;; amdgpu-corpus repo=ROCm/rocFFT kind=compiled arch=gfx906 opt=O3
	.text
	.amdgcn_target "amdgcn-amd-amdhsa--gfx906"
	.amdhsa_code_object_version 6
	.protected	fft_rtc_back_len1512_factors_2_2_2_3_3_3_7_wgs_63_tpt_63_halfLds_half_ip_CI_unitstride_sbrr_dirReg ; -- Begin function fft_rtc_back_len1512_factors_2_2_2_3_3_3_7_wgs_63_tpt_63_halfLds_half_ip_CI_unitstride_sbrr_dirReg
	.globl	fft_rtc_back_len1512_factors_2_2_2_3_3_3_7_wgs_63_tpt_63_halfLds_half_ip_CI_unitstride_sbrr_dirReg
	.p2align	8
	.type	fft_rtc_back_len1512_factors_2_2_2_3_3_3_7_wgs_63_tpt_63_halfLds_half_ip_CI_unitstride_sbrr_dirReg,@function
fft_rtc_back_len1512_factors_2_2_2_3_3_3_7_wgs_63_tpt_63_halfLds_half_ip_CI_unitstride_sbrr_dirReg: ; @fft_rtc_back_len1512_factors_2_2_2_3_3_3_7_wgs_63_tpt_63_halfLds_half_ip_CI_unitstride_sbrr_dirReg
; %bb.0:
	s_load_dwordx2 s[2:3], s[4:5], 0x50
	s_load_dwordx4 s[8:11], s[4:5], 0x0
	s_load_dwordx2 s[12:13], s[4:5], 0x18
	v_mul_u32_u24_e32 v1, 0x411, v0
	v_add_u32_sdwa v5, s6, v1 dst_sel:DWORD dst_unused:UNUSED_PAD src0_sel:DWORD src1_sel:WORD_1
	v_mov_b32_e32 v3, 0
	s_waitcnt lgkmcnt(0)
	v_cmp_lt_u64_e64 s[0:1], s[10:11], 2
	v_mov_b32_e32 v1, 0
	v_mov_b32_e32 v6, v3
	s_and_b64 vcc, exec, s[0:1]
	v_mov_b32_e32 v2, 0
	s_cbranch_vccnz .LBB0_8
; %bb.1:
	s_load_dwordx2 s[0:1], s[4:5], 0x10
	s_add_u32 s6, s12, 8
	s_addc_u32 s7, s13, 0
	v_mov_b32_e32 v1, 0
	v_mov_b32_e32 v2, 0
	s_waitcnt lgkmcnt(0)
	s_add_u32 s14, s0, 8
	s_addc_u32 s15, s1, 0
	s_mov_b64 s[16:17], 1
.LBB0_2:                                ; =>This Inner Loop Header: Depth=1
	s_load_dwordx2 s[18:19], s[14:15], 0x0
                                        ; implicit-def: $vgpr7_vgpr8
	s_waitcnt lgkmcnt(0)
	v_or_b32_e32 v4, s19, v6
	v_cmp_ne_u64_e32 vcc, 0, v[3:4]
	s_and_saveexec_b64 s[0:1], vcc
	s_xor_b64 s[20:21], exec, s[0:1]
	s_cbranch_execz .LBB0_4
; %bb.3:                                ;   in Loop: Header=BB0_2 Depth=1
	v_cvt_f32_u32_e32 v4, s18
	v_cvt_f32_u32_e32 v7, s19
	s_sub_u32 s0, 0, s18
	s_subb_u32 s1, 0, s19
	v_mac_f32_e32 v4, 0x4f800000, v7
	v_rcp_f32_e32 v4, v4
	v_mul_f32_e32 v4, 0x5f7ffffc, v4
	v_mul_f32_e32 v7, 0x2f800000, v4
	v_trunc_f32_e32 v7, v7
	v_mac_f32_e32 v4, 0xcf800000, v7
	v_cvt_u32_f32_e32 v7, v7
	v_cvt_u32_f32_e32 v4, v4
	v_mul_lo_u32 v8, s0, v7
	v_mul_hi_u32 v9, s0, v4
	v_mul_lo_u32 v11, s1, v4
	v_mul_lo_u32 v10, s0, v4
	v_add_u32_e32 v8, v9, v8
	v_add_u32_e32 v8, v8, v11
	v_mul_hi_u32 v9, v4, v10
	v_mul_lo_u32 v11, v4, v8
	v_mul_hi_u32 v13, v4, v8
	v_mul_hi_u32 v12, v7, v10
	v_mul_lo_u32 v10, v7, v10
	v_mul_hi_u32 v14, v7, v8
	v_add_co_u32_e32 v9, vcc, v9, v11
	v_addc_co_u32_e32 v11, vcc, 0, v13, vcc
	v_mul_lo_u32 v8, v7, v8
	v_add_co_u32_e32 v9, vcc, v9, v10
	v_addc_co_u32_e32 v9, vcc, v11, v12, vcc
	v_addc_co_u32_e32 v10, vcc, 0, v14, vcc
	v_add_co_u32_e32 v8, vcc, v9, v8
	v_addc_co_u32_e32 v9, vcc, 0, v10, vcc
	v_add_co_u32_e32 v4, vcc, v4, v8
	v_addc_co_u32_e32 v7, vcc, v7, v9, vcc
	v_mul_lo_u32 v8, s0, v7
	v_mul_hi_u32 v9, s0, v4
	v_mul_lo_u32 v10, s1, v4
	v_mul_lo_u32 v11, s0, v4
	v_add_u32_e32 v8, v9, v8
	v_add_u32_e32 v8, v8, v10
	v_mul_lo_u32 v12, v4, v8
	v_mul_hi_u32 v13, v4, v11
	v_mul_hi_u32 v14, v4, v8
	;; [unrolled: 1-line block ×3, first 2 shown]
	v_mul_lo_u32 v11, v7, v11
	v_mul_hi_u32 v9, v7, v8
	v_add_co_u32_e32 v12, vcc, v13, v12
	v_addc_co_u32_e32 v13, vcc, 0, v14, vcc
	v_mul_lo_u32 v8, v7, v8
	v_add_co_u32_e32 v11, vcc, v12, v11
	v_addc_co_u32_e32 v10, vcc, v13, v10, vcc
	v_addc_co_u32_e32 v9, vcc, 0, v9, vcc
	v_add_co_u32_e32 v8, vcc, v10, v8
	v_addc_co_u32_e32 v9, vcc, 0, v9, vcc
	v_add_co_u32_e32 v4, vcc, v4, v8
	v_addc_co_u32_e32 v9, vcc, v7, v9, vcc
	v_mad_u64_u32 v[7:8], s[0:1], v5, v9, 0
	v_mul_hi_u32 v10, v5, v4
	v_add_co_u32_e32 v11, vcc, v10, v7
	v_addc_co_u32_e32 v12, vcc, 0, v8, vcc
	v_mad_u64_u32 v[7:8], s[0:1], v6, v4, 0
	v_mad_u64_u32 v[9:10], s[0:1], v6, v9, 0
	v_add_co_u32_e32 v4, vcc, v11, v7
	v_addc_co_u32_e32 v4, vcc, v12, v8, vcc
	v_addc_co_u32_e32 v7, vcc, 0, v10, vcc
	v_add_co_u32_e32 v4, vcc, v4, v9
	v_addc_co_u32_e32 v9, vcc, 0, v7, vcc
	v_mul_lo_u32 v10, s19, v4
	v_mul_lo_u32 v11, s18, v9
	v_mad_u64_u32 v[7:8], s[0:1], s18, v4, 0
	v_add3_u32 v8, v8, v11, v10
	v_sub_u32_e32 v10, v6, v8
	v_mov_b32_e32 v11, s19
	v_sub_co_u32_e32 v7, vcc, v5, v7
	v_subb_co_u32_e64 v10, s[0:1], v10, v11, vcc
	v_subrev_co_u32_e64 v11, s[0:1], s18, v7
	v_subbrev_co_u32_e64 v10, s[0:1], 0, v10, s[0:1]
	v_cmp_le_u32_e64 s[0:1], s19, v10
	v_cndmask_b32_e64 v12, 0, -1, s[0:1]
	v_cmp_le_u32_e64 s[0:1], s18, v11
	v_cndmask_b32_e64 v11, 0, -1, s[0:1]
	v_cmp_eq_u32_e64 s[0:1], s19, v10
	v_cndmask_b32_e64 v10, v12, v11, s[0:1]
	v_add_co_u32_e64 v11, s[0:1], 2, v4
	v_addc_co_u32_e64 v12, s[0:1], 0, v9, s[0:1]
	v_add_co_u32_e64 v13, s[0:1], 1, v4
	v_addc_co_u32_e64 v14, s[0:1], 0, v9, s[0:1]
	v_subb_co_u32_e32 v8, vcc, v6, v8, vcc
	v_cmp_ne_u32_e64 s[0:1], 0, v10
	v_cmp_le_u32_e32 vcc, s19, v8
	v_cndmask_b32_e64 v10, v14, v12, s[0:1]
	v_cndmask_b32_e64 v12, 0, -1, vcc
	v_cmp_le_u32_e32 vcc, s18, v7
	v_cndmask_b32_e64 v7, 0, -1, vcc
	v_cmp_eq_u32_e32 vcc, s19, v8
	v_cndmask_b32_e32 v7, v12, v7, vcc
	v_cmp_ne_u32_e32 vcc, 0, v7
	v_cndmask_b32_e64 v7, v13, v11, s[0:1]
	v_cndmask_b32_e32 v8, v9, v10, vcc
	v_cndmask_b32_e32 v7, v4, v7, vcc
.LBB0_4:                                ;   in Loop: Header=BB0_2 Depth=1
	s_andn2_saveexec_b64 s[0:1], s[20:21]
	s_cbranch_execz .LBB0_6
; %bb.5:                                ;   in Loop: Header=BB0_2 Depth=1
	v_cvt_f32_u32_e32 v4, s18
	s_sub_i32 s20, 0, s18
	v_rcp_iflag_f32_e32 v4, v4
	v_mul_f32_e32 v4, 0x4f7ffffe, v4
	v_cvt_u32_f32_e32 v4, v4
	v_mul_lo_u32 v7, s20, v4
	v_mul_hi_u32 v7, v4, v7
	v_add_u32_e32 v4, v4, v7
	v_mul_hi_u32 v4, v5, v4
	v_mul_lo_u32 v7, v4, s18
	v_add_u32_e32 v8, 1, v4
	v_sub_u32_e32 v7, v5, v7
	v_subrev_u32_e32 v9, s18, v7
	v_cmp_le_u32_e32 vcc, s18, v7
	v_cndmask_b32_e32 v7, v7, v9, vcc
	v_cndmask_b32_e32 v4, v4, v8, vcc
	v_add_u32_e32 v8, 1, v4
	v_cmp_le_u32_e32 vcc, s18, v7
	v_cndmask_b32_e32 v7, v4, v8, vcc
	v_mov_b32_e32 v8, v3
.LBB0_6:                                ;   in Loop: Header=BB0_2 Depth=1
	s_or_b64 exec, exec, s[0:1]
	v_mul_lo_u32 v4, v8, s18
	v_mul_lo_u32 v11, v7, s19
	v_mad_u64_u32 v[9:10], s[0:1], v7, s18, 0
	s_load_dwordx2 s[0:1], s[6:7], 0x0
	s_add_u32 s16, s16, 1
	v_add3_u32 v4, v10, v11, v4
	v_sub_co_u32_e32 v5, vcc, v5, v9
	v_subb_co_u32_e32 v4, vcc, v6, v4, vcc
	s_waitcnt lgkmcnt(0)
	v_mul_lo_u32 v4, s0, v4
	v_mul_lo_u32 v6, s1, v5
	v_mad_u64_u32 v[1:2], s[0:1], s0, v5, v[1:2]
	s_addc_u32 s17, s17, 0
	s_add_u32 s6, s6, 8
	v_add3_u32 v2, v6, v2, v4
	v_mov_b32_e32 v4, s10
	v_mov_b32_e32 v5, s11
	s_addc_u32 s7, s7, 0
	v_cmp_ge_u64_e32 vcc, s[16:17], v[4:5]
	s_add_u32 s14, s14, 8
	s_addc_u32 s15, s15, 0
	s_cbranch_vccnz .LBB0_9
; %bb.7:                                ;   in Loop: Header=BB0_2 Depth=1
	v_mov_b32_e32 v5, v7
	v_mov_b32_e32 v6, v8
	s_branch .LBB0_2
.LBB0_8:
	v_mov_b32_e32 v8, v6
	v_mov_b32_e32 v7, v5
.LBB0_9:
	s_lshl_b64 s[0:1], s[10:11], 3
	s_add_u32 s0, s12, s0
	s_addc_u32 s1, s13, s1
	s_load_dwordx2 s[6:7], s[0:1], 0x0
	s_load_dwordx2 s[10:11], s[4:5], 0x20
	v_mov_b32_e32 v25, 0
	v_mov_b32_e32 v24, 0
	;; [unrolled: 1-line block ×3, first 2 shown]
	s_waitcnt lgkmcnt(0)
	v_mad_u64_u32 v[1:2], s[0:1], s6, v7, v[1:2]
	s_mov_b32 s0, 0x4104105
	v_mul_lo_u32 v3, s6, v8
	v_mul_lo_u32 v4, s7, v7
	v_mul_hi_u32 v5, v0, s0
	v_cmp_gt_u64_e32 vcc, s[10:11], v[7:8]
	v_mov_b32_e32 v17, 0
	v_add3_u32 v2, v4, v2, v3
	v_mul_u32_u24_e32 v3, 63, v5
	v_sub_u32_e32 v0, v0, v3
	v_lshlrev_b64 v[2:3], 2, v[1:2]
	v_mov_b32_e32 v4, 0
	v_mov_b32_e32 v16, 0
	;; [unrolled: 1-line block ×9, first 2 shown]
                                        ; implicit-def: $vgpr7
                                        ; implicit-def: $vgpr12
                                        ; implicit-def: $vgpr37
                                        ; implicit-def: $vgpr8
                                        ; implicit-def: $vgpr36
                                        ; implicit-def: $vgpr1
                                        ; implicit-def: $vgpr35
                                        ; implicit-def: $vgpr6
                                        ; implicit-def: $vgpr34
                                        ; implicit-def: $vgpr11
                                        ; implicit-def: $vgpr33
                                        ; implicit-def: $vgpr39
                                        ; implicit-def: $vgpr32
                                        ; implicit-def: $vgpr9
                                        ; implicit-def: $vgpr31
                                        ; implicit-def: $vgpr10
                                        ; implicit-def: $vgpr30
                                        ; implicit-def: $vgpr38
                                        ; implicit-def: $vgpr29
                                        ; implicit-def: $vgpr15
                                        ; implicit-def: $vgpr28
                                        ; implicit-def: $vgpr13
                                        ; implicit-def: $vgpr27
                                        ; implicit-def: $vgpr14
	s_and_saveexec_b64 s[4:5], vcc
	s_cbranch_execz .LBB0_11
; %bb.10:
	v_mov_b32_e32 v1, 0
	v_mov_b32_e32 v4, s3
	v_add_co_u32_e64 v8, s[0:1], s2, v2
	v_lshlrev_b64 v[6:7], 2, v[0:1]
	v_addc_co_u32_e64 v4, s[0:1], v4, v3, s[0:1]
	v_add_co_u32_e64 v27, s[0:1], v8, v6
	v_addc_co_u32_e64 v28, s[0:1], v4, v7, s[0:1]
	s_movk_i32 s0, 0x1000
	global_load_dword v12, v[27:28], off offset:3024
	global_load_dword v8, v[27:28], off offset:3276
	global_load_dword v1, v[27:28], off offset:3528
	global_load_dword v6, v[27:28], off offset:3780
	v_add_co_u32_e64 v29, s[0:1], s0, v27
	v_addc_co_u32_e64 v30, s[0:1], 0, v28, s[0:1]
	global_load_dword v4, v[27:28], off
	global_load_dword v25, v[27:28], off offset:252
	global_load_dword v24, v[27:28], off offset:504
	;; [unrolled: 1-line block ×19, first 2 shown]
	s_waitcnt vmcnt(8)
	v_lshrrev_b32_e32 v34, 16, v11
	v_lshrrev_b32_e32 v7, 16, v12
	;; [unrolled: 1-line block ×5, first 2 shown]
	s_waitcnt vmcnt(7)
	v_lshrrev_b32_e32 v33, 16, v39
	s_waitcnt vmcnt(6)
	v_lshrrev_b32_e32 v32, 16, v9
	;; [unrolled: 2-line block ×7, first 2 shown]
.LBB0_11:
	s_or_b64 exec, exec, s[4:5]
	v_sub_f16_e32 v12, v4, v12
	v_fma_f16 v40, v4, 2.0, -v12
	v_pack_b32_f16 v12, v40, v12
	v_lshl_add_u32 v40, v0, 2, 0
	v_sub_f16_e32 v8, v25, v8
	ds_write_b32 v40, v12
	v_fma_f16 v12, v25, 2.0, -v8
	v_pack_b32_f16 v8, v12, v8
	v_add_u32_e32 v12, 63, v0
	v_lshl_add_u32 v41, v12, 2, 0
	v_sub_f16_e32 v1, v24, v1
	ds_write_b32 v41, v8
	v_fma_f16 v8, v24, 2.0, -v1
	v_pack_b32_f16 v8, v8, v1
	v_add_u32_e32 v1, 0x7e, v0
	;; [unrolled: 6-line block ×3, first 2 shown]
	v_lshl_add_u32 v43, v6, 2, 0
	ds_write_b32 v43, v8
	v_sub_f16_e32 v8, v17, v11
	v_fma_f16 v11, v17, 2.0, -v8
	v_pack_b32_f16 v8, v11, v8
	v_add_u32_e32 v11, 0xfc, v0
	v_lshl_add_u32 v44, v11, 2, 0
	ds_write_b32 v44, v8
	v_sub_f16_e32 v8, v16, v39
	v_fma_f16 v39, v16, 2.0, -v8
	v_pack_b32_f16 v39, v39, v8
	v_add_u32_e32 v8, 0x13b, v0
	v_lshl_add_u32 v45, v8, 2, 0
	v_sub_f16_e32 v9, v18, v9
	ds_write_b32 v45, v39
	v_fma_f16 v39, v18, 2.0, -v9
	v_pack_b32_f16 v39, v39, v9
	v_add_u32_e32 v9, 0x17a, v0
	v_lshl_add_u32 v46, v9, 2, 0
	v_sub_f16_e32 v10, v19, v10
	ds_write_b32 v46, v39
	;; [unrolled: 6-line block ×5, first 2 shown]
	v_fma_f16 v38, v23, 2.0, -v13
	v_pack_b32_f16 v38, v38, v13
	v_add_u32_e32 v13, 0x276, v0
	v_lshl_add_u32 v50, v13, 2, 0
	s_waitcnt vmcnt(0)
	v_sub_f16_e32 v14, v26, v14
	ds_write_b32 v50, v38
	v_fma_f16 v38, v26, 2.0, -v14
	v_lshrrev_b32_e32 v4, 16, v4
	v_pack_b32_f16 v38, v38, v14
	v_add_u32_e32 v14, 0x2b5, v0
	v_sub_f16_e32 v7, v4, v7
	v_lshrrev_b32_e32 v25, 16, v25
	v_lshl_add_u32 v51, v14, 2, 0
	v_fma_f16 v4, v4, 2.0, -v7
	v_sub_f16_e32 v37, v25, v37
	ds_write_b32 v51, v38
	v_pack_b32_f16 v38, v4, v7
	v_lshlrev_b32_e32 v4, 1, v0
	v_fma_f16 v25, v25, 2.0, -v37
	v_add_u32_e32 v7, 0, v4
	v_pack_b32_f16 v25, v25, v37
	v_lshrrev_b32_e32 v24, 16, v24
	s_waitcnt lgkmcnt(0)
	; wave barrier
	s_waitcnt lgkmcnt(0)
	ds_read_u16 v52, v7 offset:1764
	ds_read_u16 v53, v7 offset:1890
	ds_read_u16 v54, v7
	ds_read_u16 v55, v7 offset:126
	ds_read_u16 v56, v7 offset:252
	ds_read_u16 v57, v7 offset:378
	ds_read_u16 v58, v7 offset:504
	ds_read_u16 v59, v7 offset:630
	ds_read_u16 v60, v7 offset:756
	ds_read_u16 v61, v7 offset:882
	ds_read_u16 v62, v7 offset:1008
	ds_read_u16 v63, v7 offset:1134
	ds_read_u16 v64, v7 offset:1260
	ds_read_u16 v65, v7 offset:1638
	ds_read_u16 v66, v7 offset:1512
	ds_read_u16 v67, v7 offset:1386
	ds_read_u16 v68, v7 offset:2016
	ds_read_u16 v69, v7 offset:2142
	ds_read_u16 v70, v7 offset:2268
	ds_read_u16 v71, v7 offset:2394
	ds_read_u16 v72, v7 offset:2520
	ds_read_u16 v73, v7 offset:2646
	ds_read_u16 v74, v7 offset:2772
	ds_read_u16 v75, v7 offset:2898
	s_waitcnt lgkmcnt(0)
	; wave barrier
	s_waitcnt lgkmcnt(0)
	ds_write_b32 v41, v25
	v_sub_f16_e32 v25, v24, v36
	v_fma_f16 v24, v24, 2.0, -v25
	v_pack_b32_f16 v24, v24, v25
	v_lshrrev_b32_e32 v21, 16, v21
	ds_write_b32 v42, v24
	v_sub_f16_e32 v24, v21, v35
	v_fma_f16 v21, v21, 2.0, -v24
	v_pack_b32_f16 v21, v21, v24
	v_lshrrev_b32_e32 v17, 16, v17
	;; [unrolled: 5-line block ×3, first 2 shown]
	ds_write_b32 v44, v17
	v_sub_f16_e32 v17, v16, v33
	v_fma_f16 v16, v16, 2.0, -v17
	v_pack_b32_f16 v16, v16, v17
	ds_write_b32 v45, v16
	v_lshrrev_b32_e32 v16, 16, v18
	v_sub_f16_e32 v17, v16, v32
	v_fma_f16 v16, v16, 2.0, -v17
	v_pack_b32_f16 v16, v16, v17
	ds_write_b32 v46, v16
	v_lshrrev_b32_e32 v16, 16, v19
	;; [unrolled: 5-line block ×6, first 2 shown]
	v_sub_f16_e32 v17, v16, v27
	v_fma_f16 v16, v16, 2.0, -v17
	v_pack_b32_f16 v16, v16, v17
	ds_write_b32 v51, v16
	v_and_b32_e32 v16, 1, v12
	v_lshlrev_b32_e32 v17, 2, v16
	v_and_b32_e32 v18, 1, v6
	ds_write_b32 v40, v38
	s_waitcnt lgkmcnt(0)
	; wave barrier
	s_waitcnt lgkmcnt(0)
	global_load_dword v17, v17, s[8:9]
	v_lshlrev_b32_e32 v19, 2, v18
	global_load_dword v19, v19, s[8:9]
	v_and_b32_e32 v20, 1, v8
	v_lshlrev_b32_e32 v21, 2, v20
	global_load_dword v21, v21, s[8:9]
	v_and_b32_e32 v22, 1, v10
	;; [unrolled: 3-line block ×3, first 2 shown]
	v_and_b32_e32 v28, 1, v14
	v_lshlrev_b32_e32 v25, 2, v24
	global_load_dword v25, v25, s[8:9]
	v_and_b32_e32 v26, 1, v0
	v_lshlrev_b32_e32 v29, 2, v28
	v_lshlrev_b32_e32 v27, 2, v26
	global_load_dword v30, v29, s[8:9]
	global_load_dword v31, v27, s[8:9]
	ds_read_u16 v27, v7 offset:1638
	ds_read_u16 v29, v7 offset:1764
	;; [unrolled: 1-line block ×4, first 2 shown]
	s_movk_i32 s0, 0x7c
	s_movk_i32 s1, 0x2fc
	s_mov_b32 s6, 0xbaee
	s_movk_i32 s7, 0x3aee
	s_waitcnt vmcnt(6) lgkmcnt(3)
	v_mul_f16_sdwa v34, v27, v17 dst_sel:DWORD dst_unused:UNUSED_PAD src0_sel:DWORD src1_sel:WORD_1
	v_mul_f16_sdwa v35, v65, v17 dst_sel:DWORD dst_unused:UNUSED_PAD src0_sel:DWORD src1_sel:WORD_1
	v_fma_f16 v34, v65, v17, v34
	v_fma_f16 v17, v27, v17, -v35
	s_waitcnt vmcnt(5) lgkmcnt(1)
	v_mul_f16_sdwa v27, v32, v19 dst_sel:DWORD dst_unused:UNUSED_PAD src0_sel:DWORD src1_sel:WORD_1
	v_mul_f16_sdwa v35, v53, v19 dst_sel:DWORD dst_unused:UNUSED_PAD src0_sel:DWORD src1_sel:WORD_1
	v_fma_f16 v27, v53, v19, v27
	v_fma_f16 v19, v32, v19, -v35
	ds_read_u16 v32, v7 offset:2142
	ds_read_u16 v35, v7 offset:2268
	;; [unrolled: 1-line block ×8, first 2 shown]
	s_waitcnt vmcnt(4) lgkmcnt(7)
	v_mul_f16_sdwa v43, v32, v21 dst_sel:DWORD dst_unused:UNUSED_PAD src0_sel:DWORD src1_sel:WORD_1
	v_mul_f16_sdwa v44, v69, v21 dst_sel:DWORD dst_unused:UNUSED_PAD src0_sel:DWORD src1_sel:WORD_1
	v_fma_f16 v43, v69, v21, v43
	v_fma_f16 v21, v32, v21, -v44
	s_waitcnt vmcnt(3) lgkmcnt(5)
	v_mul_f16_sdwa v32, v36, v23 dst_sel:DWORD dst_unused:UNUSED_PAD src0_sel:DWORD src1_sel:WORD_1
	v_mul_f16_sdwa v44, v71, v23 dst_sel:DWORD dst_unused:UNUSED_PAD src0_sel:DWORD src1_sel:WORD_1
	v_fma_f16 v32, v71, v23, v32
	v_fma_f16 v23, v36, v23, -v44
	s_waitcnt vmcnt(2) lgkmcnt(3)
	v_mul_f16_sdwa v36, v38, v25 dst_sel:DWORD dst_unused:UNUSED_PAD src0_sel:DWORD src1_sel:WORD_1
	v_mul_f16_sdwa v44, v73, v25 dst_sel:DWORD dst_unused:UNUSED_PAD src0_sel:DWORD src1_sel:WORD_1
	s_waitcnt vmcnt(0)
	v_mul_f16_sdwa v45, v66, v31 dst_sel:DWORD dst_unused:UNUSED_PAD src0_sel:DWORD src1_sel:WORD_1
	v_mul_f16_sdwa v46, v52, v31 dst_sel:DWORD dst_unused:UNUSED_PAD src0_sel:DWORD src1_sel:WORD_1
	;; [unrolled: 1-line block ×5, first 2 shown]
	v_fma_f16 v36, v73, v25, v36
	v_fma_f16 v25, v38, v25, -v44
	v_mul_f16_sdwa v44, v33, v31 dst_sel:DWORD dst_unused:UNUSED_PAD src0_sel:DWORD src1_sel:WORD_1
	v_fma_f16 v33, v33, v31, -v45
	v_mul_f16_sdwa v45, v29, v31 dst_sel:DWORD dst_unused:UNUSED_PAD src0_sel:DWORD src1_sel:WORD_1
	v_fma_f16 v29, v29, v31, -v46
	s_waitcnt lgkmcnt(0)
	v_mul_f16_sdwa v46, v42, v31 dst_sel:DWORD dst_unused:UNUSED_PAD src0_sel:DWORD src1_sel:WORD_1
	v_fma_f16 v42, v42, v31, -v47
	v_mul_f16_sdwa v47, v35, v31 dst_sel:DWORD dst_unused:UNUSED_PAD src0_sel:DWORD src1_sel:WORD_1
	v_fma_f16 v35, v35, v31, -v48
	;; [unrolled: 2-line block ×3, first 2 shown]
	v_mul_f16_sdwa v49, v40, v31 dst_sel:DWORD dst_unused:UNUSED_PAD src0_sel:DWORD src1_sel:WORD_1
	v_mul_f16_sdwa v50, v74, v31 dst_sel:DWORD dst_unused:UNUSED_PAD src0_sel:DWORD src1_sel:WORD_1
	v_fma_f16 v44, v66, v31, v44
	v_fma_f16 v45, v52, v31, v45
	;; [unrolled: 1-line block ×6, first 2 shown]
	v_fma_f16 v31, v40, v31, -v50
	v_mul_f16_sdwa v40, v41, v30 dst_sel:DWORD dst_unused:UNUSED_PAD src0_sel:DWORD src1_sel:WORD_1
	v_mul_f16_sdwa v50, v75, v30 dst_sel:DWORD dst_unused:UNUSED_PAD src0_sel:DWORD src1_sel:WORD_1
	v_fma_f16 v40, v75, v30, v40
	v_fma_f16 v30, v41, v30, -v50
	v_sub_f16_e32 v41, v54, v44
	v_and_or_b32 v72, v4, s0, v26
	v_fma_f16 v44, v54, 2.0, -v41
	v_lshl_add_u32 v72, v72, 1, 0
	ds_read_u16 v38, v7 offset:1386
	ds_read_u16 v50, v7 offset:1008
	;; [unrolled: 1-line block ×4, first 2 shown]
	ds_read_u16 v53, v7
	ds_read_u16 v54, v7 offset:126
	ds_read_u16 v65, v7 offset:252
	;; [unrolled: 1-line block ×7, first 2 shown]
	s_waitcnt lgkmcnt(0)
	; wave barrier
	s_waitcnt lgkmcnt(0)
	ds_write_b16 v72, v44
	ds_write_b16 v72, v41 offset:4
	s_movk_i32 s0, 0xfc
	v_lshlrev_b32_e32 v44, 1, v12
	v_sub_f16_e32 v34, v55, v34
	v_and_or_b32 v16, v44, s0, v16
	v_fma_f16 v41, v55, 2.0, -v34
	v_lshl_add_u32 v16, v16, 1, 0
	ds_write_b16 v16, v41
	ds_write_b16 v16, v34 offset:4
	v_sub_f16_e32 v34, v56, v45
	s_movk_i32 s0, 0x1fc
	v_lshlrev_b32_e32 v45, 1, v1
	v_and_or_b32 v55, v45, s0, v26
	v_fma_f16 v41, v56, 2.0, -v34
	v_lshl_add_u32 v55, v55, 1, 0
	ds_write_b16 v55, v41
	ds_write_b16 v55, v34 offset:4
	v_lshlrev_b32_e32 v41, 1, v6
	v_sub_f16_e32 v27, v57, v27
	v_and_or_b32 v18, v41, s0, v18
	v_fma_f16 v34, v57, 2.0, -v27
	v_lshl_add_u32 v18, v18, 1, 0
	ds_write_b16 v18, v34
	ds_write_b16 v18, v27 offset:4
	v_sub_f16_e32 v27, v58, v46
	s_movk_i32 s0, 0x3fc
	v_lshlrev_b32_e32 v46, 1, v11
	v_and_or_b32 v56, v46, s0, v26
	v_fma_f16 v34, v58, 2.0, -v27
	v_lshl_add_u32 v56, v56, 1, 0
	ds_write_b16 v56, v34
	ds_write_b16 v56, v27 offset:4
	v_sub_f16_e32 v27, v59, v43
	v_lshlrev_b32_e32 v43, 1, v8
	v_and_or_b32 v20, v43, s1, v20
	v_fma_f16 v34, v59, 2.0, -v27
	v_lshl_add_u32 v20, v20, 1, 0
	ds_write_b16 v20, v34
	ds_write_b16 v20, v27 offset:4
	v_sub_f16_e32 v27, v60, v47
	v_lshlrev_b32_e32 v47, 1, v9
	v_and_or_b32 v57, v47, s0, v26
	v_fma_f16 v34, v60, 2.0, -v27
	v_lshl_add_u32 v57, v57, 1, 0
	ds_write_b16 v57, v34
	ds_write_b16 v57, v27 offset:4
	v_lshlrev_b32_e32 v34, 1, v10
	v_sub_f16_e32 v27, v61, v32
	v_and_or_b32 v22, v34, s0, v22
	v_fma_f16 v32, v61, 2.0, -v27
	v_lshl_add_u32 v22, v22, 1, 0
	ds_write_b16 v22, v32
	ds_write_b16 v22, v27 offset:4
	v_lshlrev_b32_e32 v27, 1, v39
	s_movk_i32 s0, 0x7fc
	v_sub_f16_e32 v32, v62, v48
	v_and_or_b32 v48, v27, s0, v26
	v_fma_f16 v39, v62, 2.0, -v32
	v_lshl_add_u32 v48, v48, 1, 0
	ds_write_b16 v48, v39
	ds_write_b16 v48, v32 offset:4
	s_movk_i32 s0, 0x4fc
	v_lshlrev_b32_e32 v39, 1, v15
	v_sub_f16_e32 v32, v63, v36
	v_and_or_b32 v24, v39, s0, v24
	v_fma_f16 v36, v63, 2.0, -v32
	v_lshl_add_u32 v24, v24, 1, 0
	ds_write_b16 v24, v36
	ds_write_b16 v24, v32 offset:4
	v_sub_f16_e32 v32, v64, v49
	s_movk_i32 s0, 0x5fc
	v_lshlrev_b32_e32 v49, 1, v13
	v_and_or_b32 v26, v49, s0, v26
	v_fma_f16 v36, v64, 2.0, -v32
	v_lshl_add_u32 v26, v26, 1, 0
	ds_write_b16 v26, v36
	ds_write_b16 v26, v32 offset:4
	v_sub_f16_e32 v32, v67, v40
	v_lshlrev_b32_e32 v40, 1, v14
	v_and_or_b32 v28, v40, s0, v28
	v_fma_f16 v36, v67, 2.0, -v32
	v_lshl_add_u32 v28, v28, 1, 0
	ds_write_b16 v28, v36
	ds_write_b16 v28, v32 offset:4
	v_sub_f16_e32 v32, v53, v33
	v_fma_f16 v33, v53, 2.0, -v32
	v_sub_f16_e32 v17, v54, v17
	s_waitcnt lgkmcnt(0)
	; wave barrier
	s_waitcnt lgkmcnt(0)
	ds_read_u16 v36, v7 offset:1764
	ds_read_u16 v53, v7 offset:1890
	ds_read_u16 v58, v7
	ds_read_u16 v59, v7 offset:126
	ds_read_u16 v60, v7 offset:252
	;; [unrolled: 1-line block ×21, first 2 shown]
	s_waitcnt lgkmcnt(0)
	; wave barrier
	s_waitcnt lgkmcnt(0)
	ds_write_b16 v72, v33
	ds_write_b16 v72, v32 offset:4
	v_fma_f16 v32, v54, 2.0, -v17
	ds_write_b16 v16, v32
	ds_write_b16 v16, v17 offset:4
	v_sub_f16_e32 v16, v65, v29
	v_fma_f16 v17, v65, 2.0, -v16
	ds_write_b16 v55, v17
	ds_write_b16 v55, v16 offset:4
	v_sub_f16_e32 v16, v66, v19
	;; [unrolled: 4-line block ×10, first 2 shown]
	v_fma_f16 v17, v38, 2.0, -v16
	ds_write_b16 v28, v17
	ds_write_b16 v28, v16 offset:4
	v_and_b32_e32 v16, 3, v12
	v_lshlrev_b32_e32 v17, 2, v16
	v_and_b32_e32 v18, 3, v1
	s_waitcnt lgkmcnt(0)
	; wave barrier
	s_waitcnt lgkmcnt(0)
	global_load_dword v17, v17, s[8:9] offset:8
	v_lshlrev_b32_e32 v19, 2, v18
	global_load_dword v19, v19, s[8:9] offset:8
	v_and_b32_e32 v20, 3, v6
	v_lshlrev_b32_e32 v21, 2, v20
	global_load_dword v21, v21, s[8:9] offset:8
	v_and_b32_e32 v22, 3, v8
	;; [unrolled: 3-line block ×4, first 2 shown]
	v_and_b32_e32 v15, 3, v15
	v_lshlrev_b32_e32 v28, 2, v26
	global_load_dword v28, v28, s[8:9] offset:8
	v_and_b32_e32 v29, 3, v0
	v_lshlrev_b32_e32 v31, 2, v15
	v_lshlrev_b32_e32 v30, 2, v29
	global_load_dword v32, v31, s[8:9] offset:8
	global_load_dword v33, v30, s[8:9] offset:8
	v_and_b32_e32 v13, 3, v13
	v_lshlrev_b32_e32 v30, 2, v13
	v_and_b32_e32 v14, 3, v14
	global_load_dword v30, v30, s[8:9] offset:8
	v_lshlrev_b32_e32 v31, 2, v14
	global_load_dword v31, v31, s[8:9] offset:8
	ds_read_u16 v35, v7 offset:1638
	ds_read_u16 v37, v7 offset:1764
	;; [unrolled: 1-line block ×4, first 2 shown]
	s_movk_i32 s0, 0x78
	s_movk_i32 s1, 0x2f8
	s_waitcnt vmcnt(9) lgkmcnt(3)
	v_mul_f16_sdwa v48, v35, v17 dst_sel:DWORD dst_unused:UNUSED_PAD src0_sel:DWORD src1_sel:WORD_1
	v_mul_f16_sdwa v50, v76, v17 dst_sel:DWORD dst_unused:UNUSED_PAD src0_sel:DWORD src1_sel:WORD_1
	v_fma_f16 v48, v76, v17, v48
	v_fma_f16 v35, v35, v17, -v50
	s_waitcnt vmcnt(8) lgkmcnt(2)
	v_mul_f16_sdwa v17, v37, v19 dst_sel:DWORD dst_unused:UNUSED_PAD src0_sel:DWORD src1_sel:WORD_1
	v_fma_f16 v17, v36, v19, v17
	v_mul_f16_sdwa v36, v36, v19 dst_sel:DWORD dst_unused:UNUSED_PAD src0_sel:DWORD src1_sel:WORD_1
	v_fma_f16 v36, v37, v19, -v36
	s_waitcnt vmcnt(7) lgkmcnt(1)
	v_mul_f16_sdwa v19, v38, v21 dst_sel:DWORD dst_unused:UNUSED_PAD src0_sel:DWORD src1_sel:WORD_1
	v_mul_f16_sdwa v37, v53, v21 dst_sel:DWORD dst_unused:UNUSED_PAD src0_sel:DWORD src1_sel:WORD_1
	v_fma_f16 v19, v53, v21, v19
	v_fma_f16 v21, v38, v21, -v37
	ds_read_u16 v37, v7 offset:2142
	ds_read_u16 v38, v7 offset:2268
	;; [unrolled: 1-line block ×8, first 2 shown]
	s_waitcnt vmcnt(6) lgkmcnt(7)
	v_mul_f16_sdwa v56, v37, v23 dst_sel:DWORD dst_unused:UNUSED_PAD src0_sel:DWORD src1_sel:WORD_1
	v_mul_f16_sdwa v57, v80, v23 dst_sel:DWORD dst_unused:UNUSED_PAD src0_sel:DWORD src1_sel:WORD_1
	v_fma_f16 v56, v80, v23, v56
	v_fma_f16 v23, v37, v23, -v57
	s_waitcnt vmcnt(5) lgkmcnt(6)
	v_mul_f16_sdwa v37, v38, v25 dst_sel:DWORD dst_unused:UNUSED_PAD src0_sel:DWORD src1_sel:WORD_1
	v_mul_f16_sdwa v57, v81, v25 dst_sel:DWORD dst_unused:UNUSED_PAD src0_sel:DWORD src1_sel:WORD_1
	v_fma_f16 v37, v81, v25, v37
	v_fma_f16 v25, v38, v25, -v57
	s_waitcnt vmcnt(4) lgkmcnt(5)
	v_mul_f16_sdwa v38, v50, v28 dst_sel:DWORD dst_unused:UNUSED_PAD src0_sel:DWORD src1_sel:WORD_1
	v_mul_f16_sdwa v57, v82, v28 dst_sel:DWORD dst_unused:UNUSED_PAD src0_sel:DWORD src1_sel:WORD_1
	s_waitcnt vmcnt(2)
	v_mul_f16_sdwa v65, v77, v33 dst_sel:DWORD dst_unused:UNUSED_PAD src0_sel:DWORD src1_sel:WORD_1
	v_mul_f16_sdwa v66, v79, v33 dst_sel:DWORD dst_unused:UNUSED_PAD src0_sel:DWORD src1_sel:WORD_1
	v_fma_f16 v38, v82, v28, v38
	v_fma_f16 v28, v50, v28, -v57
	v_mul_f16_sdwa v57, v42, v33 dst_sel:DWORD dst_unused:UNUSED_PAD src0_sel:DWORD src1_sel:WORD_1
	v_fma_f16 v42, v42, v33, -v65
	s_waitcnt lgkmcnt(0)
	v_mul_f16_sdwa v65, v55, v33 dst_sel:DWORD dst_unused:UNUSED_PAD src0_sel:DWORD src1_sel:WORD_1
	v_fma_f16 v55, v55, v33, -v66
	v_mul_f16_sdwa v66, v51, v33 dst_sel:DWORD dst_unused:UNUSED_PAD src0_sel:DWORD src1_sel:WORD_1
	v_mul_f16_sdwa v68, v83, v33 dst_sel:DWORD dst_unused:UNUSED_PAD src0_sel:DWORD src1_sel:WORD_1
	v_fma_f16 v57, v77, v33, v57
	v_fma_f16 v65, v79, v33, v65
	v_fma_f16 v66, v83, v33, v66
	v_fma_f16 v33, v51, v33, -v68
	v_mul_f16_sdwa v51, v52, v32 dst_sel:DWORD dst_unused:UNUSED_PAD src0_sel:DWORD src1_sel:WORD_1
	v_mul_f16_sdwa v68, v84, v32 dst_sel:DWORD dst_unused:UNUSED_PAD src0_sel:DWORD src1_sel:WORD_1
	v_fma_f16 v51, v84, v32, v51
	v_fma_f16 v32, v52, v32, -v68
	s_waitcnt vmcnt(1)
	v_mul_f16_sdwa v52, v53, v30 dst_sel:DWORD dst_unused:UNUSED_PAD src0_sel:DWORD src1_sel:WORD_1
	v_mul_f16_sdwa v68, v85, v30 dst_sel:DWORD dst_unused:UNUSED_PAD src0_sel:DWORD src1_sel:WORD_1
	v_fma_f16 v52, v85, v30, v52
	v_fma_f16 v30, v53, v30, -v68
	s_waitcnt vmcnt(0)
	v_mul_f16_sdwa v53, v54, v31 dst_sel:DWORD dst_unused:UNUSED_PAD src0_sel:DWORD src1_sel:WORD_1
	v_mul_f16_sdwa v68, v86, v31 dst_sel:DWORD dst_unused:UNUSED_PAD src0_sel:DWORD src1_sel:WORD_1
	v_fma_f16 v53, v86, v31, v53
	v_fma_f16 v31, v54, v31, -v68
	v_sub_f16_e32 v54, v58, v57
	v_and_or_b32 v82, v4, s0, v29
	s_movk_i32 s0, 0xf8
	v_fma_f16 v57, v58, 2.0, -v54
	v_lshl_add_u32 v82, v82, 1, 0
	v_and_or_b32 v16, v44, s0, v16
	v_sub_f16_e32 v44, v59, v48
	s_movk_i32 s0, 0x1f8
	ds_read_u16 v50, v7 offset:1386
	ds_read_u16 v58, v7 offset:1008
	;; [unrolled: 1-line block ×4, first 2 shown]
	ds_read_u16 v70, v7
	ds_read_u16 v71, v7 offset:126
	ds_read_u16 v72, v7 offset:252
	;; [unrolled: 1-line block ×7, first 2 shown]
	s_waitcnt lgkmcnt(0)
	; wave barrier
	s_waitcnt lgkmcnt(0)
	ds_write_b16 v82, v57
	ds_write_b16 v82, v54 offset:8
	v_fma_f16 v48, v59, 2.0, -v44
	v_lshl_add_u32 v54, v16, 1, 0
	v_and_or_b32 v16, v45, s0, v18
	v_sub_f16_e32 v17, v60, v17
	ds_write_b16 v54, v48
	ds_write_b16 v54, v44 offset:8
	v_fma_f16 v18, v60, 2.0, -v17
	v_lshl_add_u32 v44, v16, 1, 0
	ds_write_b16 v44, v18
	ds_write_b16 v44, v17 offset:8
	v_and_or_b32 v16, v41, s0, v20
	v_sub_f16_e32 v17, v61, v19
	v_fma_f16 v18, v61, 2.0, -v17
	v_lshl_add_u32 v20, v16, 1, 0
	s_movk_i32 s0, 0x3f8
	ds_write_b16 v20, v18
	ds_write_b16 v20, v17 offset:8
	v_sub_f16_e32 v16, v62, v65
	v_and_or_b32 v18, v46, s0, v29
	v_fma_f16 v17, v62, 2.0, -v16
	v_lshl_add_u32 v41, v18, 1, 0
	ds_write_b16 v41, v17
	ds_write_b16 v41, v16 offset:8
	v_and_or_b32 v16, v43, s1, v22
	v_sub_f16_e32 v17, v63, v56
	v_fma_f16 v18, v63, 2.0, -v17
	v_lshl_add_u32 v22, v16, 1, 0
	ds_write_b16 v22, v18
	ds_write_b16 v22, v17 offset:8
	v_and_or_b32 v16, v47, s0, v24
	v_sub_f16_e32 v17, v64, v37
	;; [unrolled: 6-line block ×3, first 2 shown]
	v_fma_f16 v18, v67, 2.0, -v17
	v_lshl_add_u32 v26, v16, 1, 0
	s_movk_i32 s0, 0x7f8
	ds_write_b16 v26, v18
	ds_write_b16 v26, v17 offset:8
	v_and_or_b32 v16, v27, s0, v29
	v_sub_f16_e32 v17, v73, v66
	s_movk_i32 s0, 0x4f8
	v_fma_f16 v18, v73, 2.0, -v17
	v_lshl_add_u32 v27, v16, 1, 0
	v_and_or_b32 v15, v39, s0, v15
	v_sub_f16_e32 v16, v74, v51
	s_movk_i32 s0, 0x5f8
	ds_write_b16 v27, v18
	ds_write_b16 v27, v17 offset:8
	v_fma_f16 v17, v74, 2.0, -v16
	v_lshl_add_u32 v29, v15, 1, 0
	v_and_or_b32 v13, v49, s0, v13
	v_sub_f16_e32 v15, v75, v52
	ds_write_b16 v29, v17
	ds_write_b16 v29, v16 offset:8
	v_fma_f16 v16, v75, 2.0, -v15
	v_lshl_add_u32 v34, v13, 1, 0
	v_and_or_b32 v13, v40, s0, v14
	v_sub_f16_e32 v14, v78, v53
	v_sub_f16_e32 v38, v70, v42
	ds_write_b16 v34, v16
	ds_write_b16 v34, v15 offset:8
	v_fma_f16 v15, v78, 2.0, -v14
	v_lshl_add_u32 v37, v13, 1, 0
	v_fma_f16 v39, v70, 2.0, -v38
	v_sub_f16_e32 v35, v71, v35
	ds_write_b16 v37, v15
	ds_write_b16 v37, v14 offset:8
	s_waitcnt lgkmcnt(0)
	; wave barrier
	s_waitcnt lgkmcnt(0)
	ds_read_u16 v40, v7
	ds_read_u16 v13, v7 offset:126
	ds_read_u16 v19, v7 offset:252
	;; [unrolled: 1-line block ×23, first 2 shown]
	s_waitcnt lgkmcnt(0)
	; wave barrier
	s_waitcnt lgkmcnt(0)
	ds_write_b16 v82, v39
	ds_write_b16 v82, v38 offset:8
	v_fma_f16 v38, v71, 2.0, -v35
	ds_write_b16 v54, v38
	ds_write_b16 v54, v35 offset:8
	v_sub_f16_e32 v35, v72, v36
	v_fma_f16 v36, v72, 2.0, -v35
	v_sub_f16_e32 v21, v76, v21
	ds_write_b16 v44, v36
	ds_write_b16 v44, v35 offset:8
	v_fma_f16 v35, v76, 2.0, -v21
	ds_write_b16 v20, v35
	ds_write_b16 v20, v21 offset:8
	v_sub_f16_e32 v20, v77, v55
	v_fma_f16 v21, v77, 2.0, -v20
	ds_write_b16 v41, v21
	ds_write_b16 v41, v20 offset:8
	v_sub_f16_e32 v20, v79, v23
	;; [unrolled: 4-line block ×8, first 2 shown]
	v_fma_f16 v21, v50, 2.0, -v20
	v_and_b32_e32 v36, 7, v0
	ds_write_b16 v37, v21
	ds_write_b16 v37, v20 offset:8
	v_lshlrev_b32_e32 v20, 3, v36
	s_waitcnt lgkmcnt(0)
	; wave barrier
	s_waitcnt lgkmcnt(0)
	global_load_dwordx2 v[20:21], v20, s[8:9] offset:24
	v_and_b32_e32 v37, 7, v12
	v_lshlrev_b32_e32 v22, 3, v37
	global_load_dwordx2 v[22:23], v22, s[8:9] offset:24
	v_and_b32_e32 v38, 7, v1
	v_lshlrev_b32_e32 v24, 3, v38
	;; [unrolled: 3-line block ×7, first 2 shown]
	global_load_dwordx2 v[34:35], v34, s[8:9] offset:24
	ds_read_u16 v55, v7 offset:1008
	ds_read_u16 v58, v7 offset:1134
	;; [unrolled: 1-line block ×8, first 2 shown]
	s_movk_i32 s0, 0xab
	s_waitcnt vmcnt(7) lgkmcnt(7)
	v_mul_f16_sdwa v69, v55, v20 dst_sel:DWORD dst_unused:UNUSED_PAD src0_sel:DWORD src1_sel:WORD_1
	v_fma_f16 v69, v42, v20, v69
	v_mul_f16_sdwa v42, v42, v20 dst_sel:DWORD dst_unused:UNUSED_PAD src0_sel:DWORD src1_sel:WORD_1
	v_fma_f16 v20, v55, v20, -v42
	ds_read_u16 v42, v7 offset:2016
	ds_read_u16 v55, v7 offset:2142
	;; [unrolled: 1-line block ×8, first 2 shown]
	s_waitcnt lgkmcnt(7)
	v_mul_f16_sdwa v76, v42, v21 dst_sel:DWORD dst_unused:UNUSED_PAD src0_sel:DWORD src1_sel:WORD_1
	v_fma_f16 v76, v52, v21, v76
	v_mul_f16_sdwa v52, v52, v21 dst_sel:DWORD dst_unused:UNUSED_PAD src0_sel:DWORD src1_sel:WORD_1
	v_fma_f16 v21, v42, v21, -v52
	s_waitcnt vmcnt(6)
	v_mul_f16_sdwa v42, v58, v22 dst_sel:DWORD dst_unused:UNUSED_PAD src0_sel:DWORD src1_sel:WORD_1
	v_fma_f16 v42, v43, v22, v42
	v_mul_f16_sdwa v43, v43, v22 dst_sel:DWORD dst_unused:UNUSED_PAD src0_sel:DWORD src1_sel:WORD_1
	v_fma_f16 v43, v58, v22, -v43
	s_waitcnt lgkmcnt(6)
	v_mul_f16_sdwa v22, v55, v23 dst_sel:DWORD dst_unused:UNUSED_PAD src0_sel:DWORD src1_sel:WORD_1
	v_fma_f16 v52, v53, v23, v22
	v_mul_f16_sdwa v22, v53, v23 dst_sel:DWORD dst_unused:UNUSED_PAD src0_sel:DWORD src1_sel:WORD_1
	v_fma_f16 v23, v55, v23, -v22
	s_waitcnt vmcnt(5)
	v_mul_f16_sdwa v22, v63, v24 dst_sel:DWORD dst_unused:UNUSED_PAD src0_sel:DWORD src1_sel:WORD_1
	v_fma_f16 v53, v45, v24, v22
	v_mul_f16_sdwa v22, v45, v24 dst_sel:DWORD dst_unused:UNUSED_PAD src0_sel:DWORD src1_sel:WORD_1
	v_fma_f16 v24, v63, v24, -v22
	;; [unrolled: 10-line block ×7, first 2 shown]
	s_waitcnt lgkmcnt(0)
	v_mul_f16_sdwa v22, v75, v35 dst_sel:DWORD dst_unused:UNUSED_PAD src0_sel:DWORD src1_sel:WORD_1
	v_fma_f16 v51, v62, v35, v22
	v_mul_f16_sdwa v22, v62, v35 dst_sel:DWORD dst_unused:UNUSED_PAD src0_sel:DWORD src1_sel:WORD_1
	v_fma_f16 v35, v75, v35, -v22
	v_add_f16_e32 v22, v69, v76
	v_fma_f16 v22, v22, -0.5, v40
	v_sub_f16_e32 v60, v20, v21
	v_fma_f16 v61, v60, s6, v22
	v_fma_f16 v22, v60, s7, v22
	ds_read_u16 v60, v7
	ds_read_u16 v62, v7 offset:126
	ds_read_u16 v63, v7 offset:252
	ds_read_u16 v64, v7 offset:378
	ds_read_u16 v65, v7 offset:504
	ds_read_u16 v66, v7 offset:630
	ds_read_u16 v67, v7 offset:756
	ds_read_u16 v68, v7 offset:882
	s_waitcnt lgkmcnt(7)
	v_add_f16_e32 v70, v60, v20
	v_add_f16_e32 v20, v20, v21
	;; [unrolled: 1-line block ×3, first 2 shown]
	v_fma_f16 v20, v20, -0.5, v60
	v_add_f16_e32 v21, v40, v69
	v_sub_f16_e32 v40, v69, v76
	v_fma_f16 v60, v40, s7, v20
	v_fma_f16 v40, v40, s6, v20
	v_add_f16_e32 v20, v42, v52
	v_fma_f16 v20, v20, -0.5, v13
	v_sub_f16_e32 v69, v43, v23
	v_fma_f16 v71, v69, s6, v20
	v_fma_f16 v20, v69, s7, v20
	v_add_f16_e32 v69, v53, v45
	v_fma_f16 v69, v69, -0.5, v19
	;; [unrolled: 5-line block ×3, first 2 shown]
	v_sub_f16_e32 v74, v26, v27
	v_fma_f16 v75, v74, s6, v72
	v_fma_f16 v72, v74, s7, v72
	v_add_f16_e32 v74, v56, v47
	v_add_f16_e32 v21, v21, v76
	v_fma_f16 v74, v74, -0.5, v17
	v_sub_f16_e32 v76, v28, v29
	v_fma_f16 v77, v76, s6, v74
	v_fma_f16 v74, v76, s7, v74
	v_add_f16_e32 v76, v57, v48
	v_fma_f16 v76, v76, -0.5, v16
	v_sub_f16_e32 v78, v30, v31
	v_fma_f16 v79, v78, s6, v76
	v_fma_f16 v76, v78, s7, v76
	;; [unrolled: 5-line block ×4, first 2 shown]
	v_lshrrev_b32_e32 v82, 3, v0
	v_mul_u32_u24_e32 v82, 24, v82
	v_or_b32_e32 v36, v82, v36
	v_lshl_add_u32 v36, v36, 1, 0
	s_waitcnt lgkmcnt(0)
	; wave barrier
	s_waitcnt lgkmcnt(0)
	ds_write_b16 v36, v21
	ds_write_b16 v36, v61 offset:16
	ds_write_b16 v36, v22 offset:32
	v_lshrrev_b32_e32 v21, 3, v12
	v_mul_u32_u24_e32 v21, 24, v21
	v_or_b32_e32 v21, v21, v37
	v_add_f16_e32 v13, v13, v42
	v_add_f16_e32 v13, v13, v52
	v_lshl_add_u32 v37, v21, 1, 0
	ds_write_b16 v37, v13
	ds_write_b16 v37, v71 offset:16
	ds_write_b16 v37, v20 offset:32
	v_lshrrev_b32_e32 v13, 3, v1
	v_mul_u32_u24_e32 v20, 24, v13
	v_or_b32_e32 v20, v20, v38
	v_add_f16_e32 v19, v19, v53
	v_add_f16_e32 v19, v19, v45
	v_lshl_add_u32 v38, v20, 1, 0
	;; [unrolled: 9-line block ×7, first 2 shown]
	ds_write_b16 v50, v14
	ds_write_b16 v50, v83 offset:16
	ds_write_b16 v50, v80 offset:32
	s_waitcnt lgkmcnt(0)
	; wave barrier
	s_waitcnt lgkmcnt(0)
	ds_read_u16 v22, v7
	ds_read_u16 v21, v7 offset:126
	ds_read_u16 v20, v7 offset:252
	;; [unrolled: 1-line block ×23, first 2 shown]
	s_waitcnt lgkmcnt(0)
	; wave barrier
	s_waitcnt lgkmcnt(0)
	ds_write_b16 v36, v70
	ds_write_b16 v36, v60 offset:16
	ds_write_b16 v36, v40 offset:32
	v_add_f16_e32 v36, v62, v43
	v_add_f16_e32 v36, v36, v23
	;; [unrolled: 1-line block ×3, first 2 shown]
	v_fma_f16 v23, v23, -0.5, v62
	v_sub_f16_e32 v40, v42, v52
	v_fma_f16 v42, v40, s7, v23
	v_fma_f16 v23, v40, s6, v23
	ds_write_b16 v37, v36
	ds_write_b16 v37, v42 offset:16
	ds_write_b16 v37, v23 offset:32
	v_add_f16_e32 v23, v63, v24
	v_add_f16_e32 v24, v24, v25
	;; [unrolled: 1-line block ×3, first 2 shown]
	v_fma_f16 v24, v24, -0.5, v63
	v_sub_f16_e32 v25, v53, v45
	v_fma_f16 v36, v25, s7, v24
	v_fma_f16 v24, v25, s6, v24
	ds_write_b16 v38, v23
	ds_write_b16 v38, v36 offset:16
	ds_write_b16 v38, v24 offset:32
	v_add_f16_e32 v24, v26, v27
	v_add_f16_e32 v23, v64, v26
	v_fma_f16 v24, v24, -0.5, v64
	v_sub_f16_e32 v25, v55, v46
	v_add_f16_e32 v23, v23, v27
	v_fma_f16 v26, v25, s7, v24
	v_fma_f16 v24, v25, s6, v24
	ds_write_b16 v39, v23
	ds_write_b16 v39, v26 offset:16
	ds_write_b16 v39, v24 offset:32
	v_add_f16_e32 v24, v28, v29
	v_add_f16_e32 v23, v65, v28
	v_fma_f16 v24, v24, -0.5, v65
	v_sub_f16_e32 v25, v56, v47
	v_add_f16_e32 v23, v23, v29
	v_fma_f16 v26, v25, s7, v24
	v_fma_f16 v24, v25, s6, v24
	ds_write_b16 v41, v23
	ds_write_b16 v41, v26 offset:16
	ds_write_b16 v41, v24 offset:32
	v_add_f16_e32 v23, v66, v30
	v_add_f16_e32 v24, v30, v31
	;; [unrolled: 1-line block ×3, first 2 shown]
	v_fma_f16 v24, v24, -0.5, v66
	v_sub_f16_e32 v25, v57, v48
	v_fma_f16 v26, v25, s7, v24
	v_fma_f16 v24, v25, s6, v24
	ds_write_b16 v17, v23
	ds_write_b16 v17, v26 offset:16
	ds_write_b16 v17, v24 offset:32
	v_add_f16_e32 v23, v32, v33
	v_add_f16_e32 v17, v67, v32
	v_fma_f16 v23, v23, -0.5, v67
	v_sub_f16_e32 v24, v58, v49
	v_add_f16_e32 v17, v17, v33
	v_fma_f16 v25, v24, s7, v23
	v_fma_f16 v23, v24, s6, v23
	ds_write_b16 v44, v17
	ds_write_b16 v44, v25 offset:16
	ds_write_b16 v44, v23 offset:32
	v_add_f16_e32 v17, v68, v34
	v_add_f16_e32 v23, v34, v35
	;; [unrolled: 1-line block ×3, first 2 shown]
	v_fma_f16 v23, v23, -0.5, v68
	v_sub_f16_e32 v24, v59, v51
	v_fma_f16 v25, v24, s7, v23
	v_fma_f16 v23, v24, s6, v23
	ds_write_b16 v50, v17
	ds_write_b16 v50, v25 offset:16
	ds_write_b16 v50, v23 offset:32
	v_mul_lo_u16_sdwa v17, v0, s0 dst_sel:DWORD dst_unused:UNUSED_PAD src0_sel:BYTE_0 src1_sel:DWORD
	v_lshrrev_b16_e32 v23, 12, v17
	v_mul_lo_u16_e32 v17, 24, v23
	v_sub_u16_e32 v24, v0, v17
	v_mov_b32_e32 v17, 3
	v_lshlrev_b32_sdwa v25, v17, v24 dst_sel:DWORD dst_unused:UNUSED_PAD src0_sel:DWORD src1_sel:BYTE_0
	s_waitcnt lgkmcnt(0)
	; wave barrier
	s_waitcnt lgkmcnt(0)
	global_load_dwordx2 v[39:40], v25, s[8:9] offset:88
	v_mul_lo_u16_sdwa v25, v12, s0 dst_sel:DWORD dst_unused:UNUSED_PAD src0_sel:BYTE_0 src1_sel:DWORD
	v_lshrrev_b16_e32 v28, 12, v25
	v_mul_lo_u16_e32 v25, 24, v28
	v_sub_u16_e32 v30, v12, v25
	v_lshlrev_b32_sdwa v25, v17, v30 dst_sel:DWORD dst_unused:UNUSED_PAD src0_sel:DWORD src1_sel:BYTE_0
	global_load_dwordx2 v[41:42], v25, s[8:9] offset:88
	v_mul_lo_u16_sdwa v25, v1, s0 dst_sel:DWORD dst_unused:UNUSED_PAD src0_sel:BYTE_0 src1_sel:DWORD
	v_lshrrev_b16_e32 v26, 12, v25
	v_mul_lo_u16_e32 v25, 24, v26
	v_sub_u16_e32 v29, v1, v25
	v_lshlrev_b32_sdwa v25, v17, v29 dst_sel:DWORD dst_unused:UNUSED_PAD src0_sel:DWORD src1_sel:BYTE_0
	;; [unrolled: 6-line block ×3, first 2 shown]
	s_mov_b32 s0, 0xaaab
	global_load_dwordx2 v[45:46], v31, s[8:9] offset:88
	v_mul_u32_u24_sdwa v31, v11, s0 dst_sel:DWORD dst_unused:UNUSED_PAD src0_sel:WORD_0 src1_sel:DWORD
	v_lshrrev_b32_e32 v31, 20, v31
	v_mul_lo_u16_e32 v32, 24, v31
	v_sub_u16_e32 v32, v11, v32
	v_lshlrev_b32_e32 v33, 3, v32
	global_load_dwordx2 v[48:49], v33, s[8:9] offset:88
	v_mul_u32_u24_sdwa v33, v8, s0 dst_sel:DWORD dst_unused:UNUSED_PAD src0_sel:WORD_0 src1_sel:DWORD
	v_lshrrev_b32_e32 v33, 20, v33
	v_mul_lo_u16_e32 v34, 24, v33
	v_sub_u16_e32 v35, v8, v34
	v_lshlrev_b32_e32 v34, 3, v35
	;; [unrolled: 6-line block ×4, first 2 shown]
	global_load_dwordx2 v[71:72], v47, s[8:9] offset:88
	ds_read_u16 v47, v7 offset:1008
	ds_read_u16 v50, v7 offset:1134
	;; [unrolled: 1-line block ×8, first 2 shown]
	v_mul_u32_u24_e32 v23, 0x90, v23
	s_waitcnt vmcnt(7) lgkmcnt(7)
	v_mul_f16_sdwa v51, v47, v39 dst_sel:DWORD dst_unused:UNUSED_PAD src0_sel:DWORD src1_sel:WORD_1
	v_fma_f16 v90, v54, v39, v51
	v_mul_f16_sdwa v51, v54, v39 dst_sel:DWORD dst_unused:UNUSED_PAD src0_sel:DWORD src1_sel:WORD_1
	v_fma_f16 v91, v47, v39, -v51
	ds_read_u16 v39, v7 offset:2016
	ds_read_u16 v47, v7 offset:2142
	;; [unrolled: 1-line block ×8, first 2 shown]
	s_waitcnt lgkmcnt(7)
	v_mul_f16_sdwa v51, v39, v40 dst_sel:DWORD dst_unused:UNUSED_PAD src0_sel:DWORD src1_sel:WORD_1
	v_fma_f16 v96, v79, v40, v51
	v_mul_f16_sdwa v51, v79, v40 dst_sel:DWORD dst_unused:UNUSED_PAD src0_sel:DWORD src1_sel:WORD_1
	v_fma_f16 v79, v39, v40, -v51
	s_waitcnt vmcnt(6)
	v_mul_f16_sdwa v39, v50, v41 dst_sel:DWORD dst_unused:UNUSED_PAD src0_sel:DWORD src1_sel:WORD_1
	v_fma_f16 v55, v61, v41, v39
	v_mul_f16_sdwa v39, v61, v41 dst_sel:DWORD dst_unused:UNUSED_PAD src0_sel:DWORD src1_sel:WORD_1
	v_fma_f16 v62, v50, v41, -v39
	s_waitcnt lgkmcnt(6)
	v_mul_f16_sdwa v39, v47, v42 dst_sel:DWORD dst_unused:UNUSED_PAD src0_sel:DWORD src1_sel:WORD_1
	v_fma_f16 v63, v80, v42, v39
	v_mul_f16_sdwa v39, v80, v42 dst_sel:DWORD dst_unused:UNUSED_PAD src0_sel:DWORD src1_sel:WORD_1
	v_fma_f16 v66, v47, v42, -v39
	s_waitcnt vmcnt(5)
	v_mul_f16_sdwa v39, v52, v43 dst_sel:DWORD dst_unused:UNUSED_PAD src0_sel:DWORD src1_sel:WORD_1
	v_fma_f16 v51, v73, v43, v39
	v_mul_f16_sdwa v39, v73, v43 dst_sel:DWORD dst_unused:UNUSED_PAD src0_sel:DWORD src1_sel:WORD_1
	v_fma_f16 v59, v52, v43, -v39
	;; [unrolled: 10-line block ×6, first 2 shown]
	s_waitcnt lgkmcnt(1)
	v_mul_f16_sdwa v39, v94, v70 dst_sel:DWORD dst_unused:UNUSED_PAD src0_sel:DWORD src1_sel:WORD_1
	v_fma_f16 v46, v85, v70, v39
	v_mul_f16_sdwa v39, v85, v70 dst_sel:DWORD dst_unused:UNUSED_PAD src0_sel:DWORD src1_sel:WORD_1
	v_lshlrev_b64 v[67:68], 2, v[4:5]
	v_add_f16_e32 v4, v90, v96
	v_fma_f16 v54, v94, v70, -v39
	s_waitcnt vmcnt(0)
	v_mul_f16_sdwa v39, v89, v71 dst_sel:DWORD dst_unused:UNUSED_PAD src0_sel:DWORD src1_sel:WORD_1
	v_mul_f16_sdwa v42, v78, v71 dst_sel:DWORD dst_unused:UNUSED_PAD src0_sel:DWORD src1_sel:WORD_1
	s_waitcnt lgkmcnt(0)
	v_mul_f16_sdwa v43, v95, v72 dst_sel:DWORD dst_unused:UNUSED_PAD src0_sel:DWORD src1_sel:WORD_1
	v_mul_f16_sdwa v50, v86, v72 dst_sel:DWORD dst_unused:UNUSED_PAD src0_sel:DWORD src1_sel:WORD_1
	v_fma_f16 v4, v4, -0.5, v22
	v_sub_f16_e32 v70, v91, v79
	v_fma_f16 v39, v78, v71, v39
	v_fma_f16 v42, v89, v71, -v42
	v_fma_f16 v43, v86, v72, v43
	v_fma_f16 v50, v95, v72, -v50
	v_fma_f16 v71, v70, s6, v4
	v_fma_f16 v4, v70, s7, v4
	ds_read_u16 v70, v7
	ds_read_u16 v72, v7 offset:126
	ds_read_u16 v73, v7 offset:252
	;; [unrolled: 1-line block ×7, first 2 shown]
	s_waitcnt lgkmcnt(7)
	v_add_f16_e32 v80, v70, v91
	v_add_f16_e32 v80, v80, v79
	;; [unrolled: 1-line block ×3, first 2 shown]
	v_fma_f16 v70, v79, -0.5, v70
	v_sub_f16_e32 v79, v90, v96
	v_fma_f16 v81, v79, s7, v70
	v_fma_f16 v70, v79, s6, v70
	v_add_f16_e32 v79, v55, v63
	v_fma_f16 v79, v79, -0.5, v21
	v_sub_f16_e32 v82, v62, v66
	v_fma_f16 v83, v82, s6, v79
	v_fma_f16 v79, v82, s7, v79
	v_add_f16_e32 v82, v51, v60
	;; [unrolled: 5-line block ×5, first 2 shown]
	v_add_f16_e32 v22, v22, v90
	v_fma_f16 v88, v88, -0.5, v16
	v_sub_f16_e32 v90, v48, v58
	v_fma_f16 v91, v90, s6, v88
	v_fma_f16 v88, v90, s7, v88
	v_add_f16_e32 v90, v40, v46
	v_fma_f16 v90, v90, -0.5, v15
	v_sub_f16_e32 v92, v45, v54
	v_fma_f16 v93, v92, s6, v90
	v_fma_f16 v90, v92, s7, v90
	;; [unrolled: 5-line block ×3, first 2 shown]
	v_mov_b32_e32 v94, 1
	v_lshlrev_b32_sdwa v24, v94, v24 dst_sel:DWORD dst_unused:UNUSED_PAD src0_sel:DWORD src1_sel:BYTE_0
	v_add_f16_e32 v22, v22, v96
	v_add3_u32 v23, 0, v23, v24
	s_waitcnt lgkmcnt(0)
	; wave barrier
	s_waitcnt lgkmcnt(0)
	ds_write_b16 v23, v22
	ds_write_b16 v23, v71 offset:48
	ds_write_b16 v23, v4 offset:96
	v_lshlrev_b32_sdwa v4, v94, v30 dst_sel:DWORD dst_unused:UNUSED_PAD src0_sel:DWORD src1_sel:BYTE_0
	v_mul_u32_u24_e32 v22, 0x90, v28
	v_add_f16_e32 v21, v21, v55
	v_add3_u32 v4, 0, v22, v4
	v_add_f16_e32 v21, v21, v63
	ds_write_b16 v4, v21
	ds_write_b16 v4, v83 offset:48
	ds_write_b16 v4, v79 offset:96
	v_lshlrev_b32_sdwa v21, v94, v29 dst_sel:DWORD dst_unused:UNUSED_PAD src0_sel:DWORD src1_sel:BYTE_0
	v_mul_u32_u24_e32 v22, 0x90, v26
	v_add_f16_e32 v20, v20, v51
	v_add3_u32 v21, 0, v22, v21
	v_add_f16_e32 v20, v20, v60
	ds_write_b16 v21, v20
	ds_write_b16 v21, v85 offset:48
	ds_write_b16 v21, v82 offset:96
	v_lshlrev_b32_sdwa v20, v94, v27 dst_sel:DWORD dst_unused:UNUSED_PAD src0_sel:DWORD src1_sel:BYTE_0
	v_mul_u32_u24_e32 v22, 0x90, v25
	v_add_f16_e32 v19, v19, v47
	v_add3_u32 v20, 0, v22, v20
	v_add_f16_e32 v19, v19, v57
	ds_write_b16 v20, v19
	ds_write_b16 v20, v87 offset:48
	ds_write_b16 v20, v84 offset:96
	v_lshlrev_b32_e32 v19, 1, v32
	v_mul_u32_u24_e32 v22, 0x90, v31
	v_add_f16_e32 v18, v18, v44
	v_add3_u32 v19, 0, v22, v19
	v_add_f16_e32 v18, v18, v53
	ds_write_b16 v19, v18
	ds_write_b16 v19, v89 offset:48
	ds_write_b16 v19, v86 offset:96
	v_lshlrev_b32_e32 v18, 1, v35
	v_mul_u32_u24_e32 v22, 0x90, v33
	v_add_f16_e32 v16, v16, v41
	v_add3_u32 v18, 0, v22, v18
	v_add_f16_e32 v16, v16, v49
	;; [unrolled: 8-line block ×4, first 2 shown]
	ds_write_b16 v24, v14
	ds_write_b16 v24, v95 offset:48
	ds_write_b16 v24, v92 offset:96
	s_waitcnt lgkmcnt(0)
	; wave barrier
	s_waitcnt lgkmcnt(0)
	ds_read_u16 v31, v7
	ds_read_u16 v32, v7 offset:126
	ds_read_u16 v33, v7 offset:252
	ds_read_u16 v34, v7 offset:378
	ds_read_u16 v83, v7 offset:504
	ds_read_u16 v16, v7 offset:630
	ds_read_u16 v15, v7 offset:756
	ds_read_u16 v14, v7 offset:882
	ds_read_u16 v35, v7 offset:1008
	ds_read_u16 v36, v7 offset:1134
	ds_read_u16 v37, v7 offset:1260
	ds_read_u16 v71, v7 offset:1386
	ds_read_u16 v79, v7 offset:1512
	ds_read_u16 v82, v7 offset:1638
	ds_read_u16 v84, v7 offset:1764
	ds_read_u16 v85, v7 offset:1890
	ds_read_u16 v38, v7 offset:2016
	ds_read_u16 v86, v7 offset:2142
	ds_read_u16 v87, v7 offset:2268
	ds_read_u16 v88, v7 offset:2394
	ds_read_u16 v89, v7 offset:2520
	ds_read_u16 v90, v7 offset:2646
	ds_read_u16 v91, v7 offset:2772
	ds_read_u16 v92, v7 offset:2898
	s_waitcnt lgkmcnt(0)
	; wave barrier
	s_waitcnt lgkmcnt(0)
	ds_write_b16 v23, v80
	ds_write_b16 v23, v81 offset:48
	ds_write_b16 v23, v70 offset:96
	v_add_f16_e32 v23, v72, v62
	v_add_f16_e32 v25, v62, v66
	v_add_f16_e32 v23, v23, v66
	v_fma_f16 v25, v25, -0.5, v72
	v_sub_f16_e32 v26, v55, v63
	v_fma_f16 v27, v26, s7, v25
	v_fma_f16 v25, v26, s6, v25
	ds_write_b16 v4, v23
	ds_write_b16 v4, v27 offset:48
	ds_write_b16 v4, v25 offset:96
	v_add_f16_e32 v4, v73, v59
	v_add_f16_e32 v23, v59, v65
	v_add_f16_e32 v4, v4, v65
	v_fma_f16 v23, v23, -0.5, v73
	v_sub_f16_e32 v25, v51, v60
	v_fma_f16 v26, v25, s7, v23
	v_fma_f16 v23, v25, s6, v23
	;; [unrolled: 10-line block ×5, first 2 shown]
	ds_write_b16 v18, v4
	ds_write_b16 v18, v21 offset:48
	ds_write_b16 v18, v19 offset:96
	v_add_f16_e32 v18, v45, v54
	v_add_f16_e32 v4, v77, v45
	v_fma_f16 v18, v18, -0.5, v77
	v_sub_f16_e32 v19, v40, v46
	v_add_f16_e32 v4, v4, v54
	v_fma_f16 v20, v19, s7, v18
	v_fma_f16 v18, v19, s6, v18
	v_mov_b32_e32 v69, s9
	v_add_co_u32_e64 v67, s[0:1], s8, v67
	ds_write_b16 v22, v4
	ds_write_b16 v22, v20 offset:48
	ds_write_b16 v22, v18 offset:96
	v_add_f16_e32 v4, v78, v42
	v_add_f16_e32 v18, v42, v50
	v_addc_co_u32_e64 v68, s[0:1], v69, v68, s[0:1]
	v_add_f16_e32 v4, v4, v50
	v_fma_f16 v18, v18, -0.5, v78
	v_sub_f16_e32 v19, v39, v43
	v_fma_f16 v20, v19, s7, v18
	v_fma_f16 v18, v19, s6, v18
	ds_write_b16 v24, v4
	ds_write_b16 v24, v20 offset:48
	ds_write_b16 v24, v18 offset:96
	v_add_u32_e32 v4, -9, v0
	v_cmp_gt_u32_e64 s[0:1], 9, v0
	v_cndmask_b32_e64 v4, v4, v12, s[0:1]
	v_lshlrev_b32_e32 v4, 1, v4
	v_lshlrev_b64 v[20:21], 2, v[4:5]
	s_waitcnt lgkmcnt(0)
	; wave barrier
	s_waitcnt lgkmcnt(0)
	global_load_dwordx2 v[18:19], v[67:68], off offset:280
	v_add_co_u32_e64 v20, s[0:1], s8, v20
	v_mov_b32_e32 v5, 57
	v_addc_co_u32_e64 v21, s[0:1], v69, v21, s[0:1]
	v_mul_lo_u16_sdwa v12, v1, v5 dst_sel:DWORD dst_unused:UNUSED_PAD src0_sel:BYTE_0 src1_sel:DWORD
	v_mul_lo_u16_sdwa v5, v6, v5 dst_sel:DWORD dst_unused:UNUSED_PAD src0_sel:BYTE_0 src1_sel:DWORD
	global_load_dwordx2 v[20:21], v[20:21], off offset:280
	v_lshrrev_b16_e32 v42, 12, v12
	v_lshrrev_b16_e32 v49, 12, v5
	v_mul_lo_u16_e32 v12, 0x48, v42
	v_mul_lo_u16_e32 v5, 0x48, v49
	v_sub_u16_e32 v43, v1, v12
	v_sub_u16_e32 v50, v6, v5
	v_lshlrev_b32_sdwa v12, v17, v43 dst_sel:DWORD dst_unused:UNUSED_PAD src0_sel:DWORD src1_sel:BYTE_0
	v_lshlrev_b32_sdwa v5, v17, v50 dst_sel:DWORD dst_unused:UNUSED_PAD src0_sel:DWORD src1_sel:BYTE_0
	s_mov_b32 s0, 0xe38f
	global_load_dwordx2 v[23:24], v12, s[8:9] offset:280
	global_load_dwordx2 v[25:26], v5, s[8:9] offset:280
	v_mul_u32_u24_sdwa v5, v11, s0 dst_sel:DWORD dst_unused:UNUSED_PAD src0_sel:WORD_0 src1_sel:DWORD
	v_lshrrev_b32_e32 v51, 22, v5
	v_mul_lo_u16_e32 v5, 0x48, v51
	v_sub_u16_e32 v52, v11, v5
	v_lshlrev_b32_e32 v5, 3, v52
	global_load_dwordx2 v[11:12], v5, s[8:9] offset:280
	v_mul_u32_u24_sdwa v5, v8, s0 dst_sel:DWORD dst_unused:UNUSED_PAD src0_sel:WORD_0 src1_sel:DWORD
	v_lshrrev_b32_e32 v53, 22, v5
	v_mul_lo_u16_e32 v5, 0x48, v53
	v_sub_u16_e32 v54, v8, v5
	v_lshlrev_b32_e32 v5, 3, v54
	;; [unrolled: 6-line block ×4, first 2 shown]
	global_load_dwordx2 v[29:30], v5, s[8:9] offset:280
	ds_read_u16 v10, v7 offset:1008
	ds_read_u16 v39, v7 offset:1134
	;; [unrolled: 1-line block ×8, first 2 shown]
	v_cmp_lt_u32_e64 s[0:1], 8, v0
	v_lshl_add_u32 v78, v78, 1, 0
	s_waitcnt vmcnt(7) lgkmcnt(7)
	v_mul_f16_sdwa v5, v10, v18 dst_sel:DWORD dst_unused:UNUSED_PAD src0_sel:DWORD src1_sel:WORD_1
	v_mul_f16_sdwa v17, v35, v18 dst_sel:DWORD dst_unused:UNUSED_PAD src0_sel:DWORD src1_sel:WORD_1
	v_fma_f16 v5, v35, v18, v5
	v_fma_f16 v17, v10, v18, -v17
	ds_read_u16 v10, v7 offset:2016
	ds_read_u16 v44, v7 offset:2142
	;; [unrolled: 1-line block ×8, first 2 shown]
	s_waitcnt lgkmcnt(7)
	v_mul_f16_sdwa v18, v10, v19 dst_sel:DWORD dst_unused:UNUSED_PAD src0_sel:DWORD src1_sel:WORD_1
	v_fma_f16 v22, v38, v19, v18
	v_mul_f16_sdwa v18, v38, v19 dst_sel:DWORD dst_unused:UNUSED_PAD src0_sel:DWORD src1_sel:WORD_1
	v_fma_f16 v46, v10, v19, -v18
	s_waitcnt vmcnt(6)
	v_mul_f16_sdwa v10, v39, v20 dst_sel:DWORD dst_unused:UNUSED_PAD src0_sel:DWORD src1_sel:WORD_1
	v_fma_f16 v18, v36, v20, v10
	v_mul_f16_sdwa v10, v36, v20 dst_sel:DWORD dst_unused:UNUSED_PAD src0_sel:DWORD src1_sel:WORD_1
	v_fma_f16 v35, v39, v20, -v10
	s_waitcnt lgkmcnt(6)
	v_mul_f16_sdwa v10, v44, v21 dst_sel:DWORD dst_unused:UNUSED_PAD src0_sel:DWORD src1_sel:WORD_1
	v_fma_f16 v36, v86, v21, v10
	v_mul_f16_sdwa v10, v86, v21 dst_sel:DWORD dst_unused:UNUSED_PAD src0_sel:DWORD src1_sel:WORD_1
	v_fma_f16 v56, v44, v21, -v10
	s_waitcnt vmcnt(5)
	v_mul_f16_sdwa v10, v40, v23 dst_sel:DWORD dst_unused:UNUSED_PAD src0_sel:DWORD src1_sel:WORD_1
	v_fma_f16 v20, v37, v23, v10
	v_mul_f16_sdwa v10, v37, v23 dst_sel:DWORD dst_unused:UNUSED_PAD src0_sel:DWORD src1_sel:WORD_1
	v_fma_f16 v38, v40, v23, -v10
	;; [unrolled: 10-line block ×7, first 2 shown]
	s_waitcnt lgkmcnt(0)
	v_mul_f16_sdwa v8, v68, v30 dst_sel:DWORD dst_unused:UNUSED_PAD src0_sel:DWORD src1_sel:WORD_1
	v_fma_f16 v64, v92, v30, v8
	v_mul_f16_sdwa v8, v92, v30 dst_sel:DWORD dst_unused:UNUSED_PAD src0_sel:DWORD src1_sel:WORD_1
	v_fma_f16 v68, v68, v30, -v8
	v_mov_b32_e32 v8, 0x1b0
	v_cndmask_b32_e64 v8, 0, v8, s[0:1]
	v_add3_u32 v4, 0, v8, v4
	v_add_f16_e32 v8, v5, v22
	v_fma_f16 v8, v8, -0.5, v31
	v_sub_f16_e32 v9, v17, v46
	v_fma_f16 v12, v9, s6, v8
	v_fma_f16 v19, v9, s7, v8
	v_add_f16_e32 v8, v18, v36
	v_fma_f16 v8, v8, -0.5, v32
	v_sub_f16_e32 v9, v35, v56
	v_fma_f16 v24, v9, s6, v8
	v_fma_f16 v25, v9, s7, v8
	;; [unrolled: 5-line block ×4, first 2 shown]
	v_add_f16_e32 v8, v23, v48
	v_fma_f16 v8, v8, -0.5, v83
	v_sub_f16_e32 v9, v47, v65
	v_lshlrev_b32_sdwa v10, v94, v43 dst_sel:DWORD dst_unused:UNUSED_PAD src0_sel:DWORD src1_sel:BYTE_0
	v_fma_f16 v30, v9, s6, v8
	v_fma_f16 v43, v9, s7, v8
	v_add_f16_e32 v8, v37, v58
	v_fma_f16 v8, v8, -0.5, v16
	v_sub_f16_e32 v9, v57, v66
	v_add_f16_e32 v31, v31, v5
	v_lshlrev_b32_sdwa v11, v94, v50 dst_sel:DWORD dst_unused:UNUSED_PAD src0_sel:DWORD src1_sel:BYTE_0
	v_fma_f16 v50, v9, s6, v8
	v_fma_f16 v84, v9, s7, v8
	v_add_f16_e32 v8, v40, v61
	v_add_f16_e32 v31, v31, v22
	v_fma_f16 v8, v8, -0.5, v15
	v_sub_f16_e32 v9, v60, v67
	ds_read_u16 v82, v7
	ds_read_u16 v81, v7 offset:126
	ds_read_u16 v80, v7 offset:252
	;; [unrolled: 1-line block ×7, first 2 shown]
	s_waitcnt lgkmcnt(0)
	; wave barrier
	s_waitcnt lgkmcnt(0)
	ds_write_b16 v7, v31
	ds_write_b16 v7, v12 offset:144
	ds_write_b16 v7, v19 offset:288
	v_add_f16_e32 v12, v32, v18
	v_fma_f16 v85, v9, s6, v8
	v_fma_f16 v86, v9, s7, v8
	v_add_f16_e32 v8, v45, v64
	v_add_f16_e32 v12, v12, v36
	v_fma_f16 v9, v8, -0.5, v14
	v_sub_f16_e32 v69, v63, v68
	ds_write_b16 v4, v12
	ds_write_b16 v4, v24 offset:144
	ds_write_b16 v4, v25 offset:288
	v_mul_u32_u24_e32 v12, 0x1b0, v42
	v_fma_f16 v8, v69, s6, v9
	v_fma_f16 v9, v69, s7, v9
	v_add3_u32 v69, 0, v12, v10
	v_add_f16_e32 v10, v33, v20
	v_add_f16_e32 v10, v10, v39
	ds_write_b16 v69, v10
	ds_write_b16 v69, v26 offset:144
	ds_write_b16 v69, v27 offset:288
	v_mul_u32_u24_e32 v10, 0x1b0, v49
	v_add3_u32 v71, 0, v10, v11
	v_add_f16_e32 v10, v34, v21
	v_add_f16_e32 v10, v10, v44
	ds_write_b16 v71, v10
	ds_write_b16 v71, v28 offset:144
	ds_write_b16 v71, v29 offset:288
	v_lshlrev_b32_e32 v10, 1, v52
	v_mul_u32_u24_e32 v11, 0x1b0, v51
	v_add3_u32 v73, 0, v11, v10
	v_add_f16_e32 v10, v83, v23
	v_add_f16_e32 v10, v10, v48
	ds_write_b16 v73, v10
	ds_write_b16 v73, v30 offset:144
	ds_write_b16 v73, v43 offset:288
	v_lshlrev_b32_e32 v10, 1, v54
	v_mul_u32_u24_e32 v11, 0x1b0, v53
	v_add3_u32 v75, 0, v11, v10
	v_add_f16_e32 v10, v16, v37
	v_add_f16_e32 v10, v10, v58
	ds_write_b16 v75, v10
	ds_write_b16 v75, v50 offset:144
	ds_write_b16 v75, v84 offset:288
	v_lshlrev_b32_e32 v10, 1, v76
	v_mul_u32_u24_e32 v11, 0x1b0, v55
	v_add3_u32 v76, 0, v11, v10
	v_add_f16_e32 v10, v15, v40
	v_add_f16_e32 v10, v10, v61
	ds_write_b16 v76, v10
	ds_write_b16 v76, v85 offset:144
	ds_write_b16 v76, v86 offset:288
	v_add_f16_e32 v10, v14, v45
	v_add_f16_e32 v10, v10, v64
	ds_write_b16 v78, v10 offset:2592
	ds_write_b16 v78, v8 offset:2736
	;; [unrolled: 1-line block ×3, first 2 shown]
	s_waitcnt lgkmcnt(0)
	; wave barrier
	s_waitcnt lgkmcnt(0)
	ds_read_u16 v19, v7
	ds_read_u16 v30, v7 offset:126
	ds_read_u16 v32, v7 offset:2286
	;; [unrolled: 1-line block ×20, first 2 shown]
	v_cmp_gt_u32_e64 s[0:1], 27, v0
                                        ; implicit-def: $vgpr12
                                        ; implicit-def: $vgpr11
                                        ; implicit-def: $vgpr14
                                        ; implicit-def: $vgpr15
	s_and_saveexec_b64 s[4:5], s[0:1]
	s_cbranch_execz .LBB0_13
; %bb.12:
	ds_read_u16 v10, v7 offset:378
	ds_read_u16 v8, v7 offset:810
	;; [unrolled: 1-line block ×7, first 2 shown]
.LBB0_13:
	s_or_b64 exec, exec, s[4:5]
	v_add_f16_e32 v16, v82, v17
	v_add_f16_e32 v83, v16, v46
	v_add_f16_e32 v16, v17, v46
	v_fma_f16 v16, v16, -0.5, v82
	v_sub_f16_e32 v5, v5, v22
	v_fma_f16 v22, v5, s7, v16
	v_fma_f16 v5, v5, s6, v16
	v_add_f16_e32 v16, v81, v35
	v_add_f16_e32 v46, v16, v56
	v_add_f16_e32 v16, v35, v56
	v_fma_f16 v16, v16, -0.5, v81
	v_sub_f16_e32 v17, v18, v36
	v_fma_f16 v35, v17, s7, v16
	v_fma_f16 v36, v17, s6, v16
	;; [unrolled: 7-line block ×7, first 2 shown]
	v_add_f16_e32 v17, v63, v68
	v_add_f16_e32 v16, v70, v63
	v_fma_f16 v18, v17, -0.5, v70
	v_sub_f16_e32 v45, v45, v64
	v_add_f16_e32 v16, v16, v68
	v_fma_f16 v17, v45, s7, v18
	v_fma_f16 v18, v45, s6, v18
	s_waitcnt lgkmcnt(0)
	; wave barrier
	s_waitcnt lgkmcnt(0)
	ds_write_b16 v7, v83
	ds_write_b16 v7, v22 offset:144
	ds_write_b16 v7, v5 offset:288
	ds_write_b16 v4, v46
	ds_write_b16 v4, v35 offset:144
	ds_write_b16 v4, v36 offset:288
	;; [unrolled: 3-line block ×7, first 2 shown]
	ds_write_b16 v78, v16 offset:2592
	ds_write_b16 v78, v17 offset:2736
	;; [unrolled: 1-line block ×3, first 2 shown]
	s_waitcnt lgkmcnt(0)
	; wave barrier
	s_waitcnt lgkmcnt(0)
	ds_read_u16 v35, v7
	ds_read_u16 v44, v7 offset:126
	ds_read_u16 v56, v7 offset:558
	;; [unrolled: 1-line block ×20, first 2 shown]
                                        ; implicit-def: $vgpr21
                                        ; implicit-def: $vgpr20
                                        ; implicit-def: $vgpr22
                                        ; implicit-def: $vgpr23
	s_and_saveexec_b64 s[4:5], s[0:1]
	s_cbranch_execz .LBB0_15
; %bb.14:
	ds_read_u16 v16, v7 offset:378
	ds_read_u16 v17, v7 offset:810
	;; [unrolled: 1-line block ×7, first 2 shown]
.LBB0_15:
	s_or_b64 exec, exec, s[4:5]
	s_and_saveexec_b64 s[4:5], vcc
	s_cbranch_execz .LBB0_18
; %bb.16:
	v_mul_u32_u24_e32 v4, 6, v1
	v_lshlrev_b32_e32 v4, 2, v4
	global_load_dwordx4 v[65:68], v4, s[8:9] offset:856
	global_load_dwordx2 v[73:74], v4, s[8:9] offset:872
	v_mov_b32_e32 v4, 0xfffffe86
	v_mov_b32_e32 v5, 0
	v_mad_u32_u24 v4, v1, 6, v4
	v_lshlrev_b64 v[69:70], 2, v[4:5]
	v_mov_b32_e32 v7, s9
	v_add_co_u32_e32 v75, vcc, s8, v69
	v_addc_co_u32_e32 v76, vcc, v7, v70, vcc
	global_load_dwordx4 v[69:72], v[75:76], off offset:856
	global_load_dwordx2 v[77:78], v[75:76], off offset:872
	s_mov_b32 s5, 0xb574
	s_movk_i32 s11, 0x3574
	s_movk_i32 s14, 0x3a52
	s_mov_b32 s6, 0xbcab
	s_mov_b32 s10, 0xbb00
	;; [unrolled: 1-line block ×3, first 2 shown]
	s_movk_i32 s13, 0x39e0
	s_mov_b32 s4, 0xb70e
	s_movk_i32 s7, 0x2b26
	s_waitcnt vmcnt(3) lgkmcnt(12)
	v_mul_f16_sdwa v1, v59, v65 dst_sel:DWORD dst_unused:UNUSED_PAD src0_sel:DWORD src1_sel:WORD_1
	s_waitcnt lgkmcnt(8)
	v_mul_f16_sdwa v7, v60, v68 dst_sel:DWORD dst_unused:UNUSED_PAD src0_sel:DWORD src1_sel:WORD_1
	s_waitcnt lgkmcnt(6)
	;; [unrolled: 2-line block ×3, first 2 shown]
	v_mul_f16_sdwa v76, v61, v66 dst_sel:DWORD dst_unused:UNUSED_PAD src0_sel:DWORD src1_sel:WORD_1
	s_waitcnt vmcnt(2) lgkmcnt(0)
	v_mul_f16_sdwa v79, v63, v73 dst_sel:DWORD dst_unused:UNUSED_PAD src0_sel:DWORD src1_sel:WORD_1
	v_mul_f16_sdwa v4, v64, v74 dst_sel:DWORD dst_unused:UNUSED_PAD src0_sel:DWORD src1_sel:WORD_1
	;; [unrolled: 1-line block ×8, first 2 shown]
	v_fma_f16 v1, v50, v65, v1
	v_fma_f16 v7, v51, v68, v7
	;; [unrolled: 1-line block ×6, first 2 shown]
	v_fma_f16 v53, v64, v74, -v80
	v_fma_f16 v54, v59, v65, -v81
	;; [unrolled: 1-line block ×6, first 2 shown]
	v_sub_f16_e32 v63, v7, v50
	v_sub_f16_e32 v64, v51, v52
	;; [unrolled: 1-line block ×3, first 2 shown]
	v_add_f16_e32 v65, v54, v53
	v_add_f16_e32 v66, v59, v55
	;; [unrolled: 1-line block ×6, first 2 shown]
	v_sub_f16_e32 v51, v59, v55
	v_add_f16_e32 v55, v63, v64
	v_sub_f16_e32 v50, v54, v53
	v_sub_f16_e32 v52, v61, v60
	;; [unrolled: 1-line block ×4, first 2 shown]
	v_add_f16_e32 v61, v65, v67
	v_add_f16_e32 v73, v1, v7
	;; [unrolled: 1-line block ×3, first 2 shown]
	v_sub_f16_e32 v62, v64, v62
	v_sub_f16_e32 v60, v66, v67
	;; [unrolled: 1-line block ×6, first 2 shown]
	v_add_f16_e32 v51, v51, v52
	v_mul_f16_e32 v54, 0x3846, v54
	v_add_f16_e32 v61, v66, v61
	v_add_f16_e32 v4, v4, v73
	v_mul_f16_e32 v64, 0xbb00, v62
	v_sub_f16_e32 v59, v65, v66
	v_mul_f16_e32 v60, 0x2b26, v60
	v_mul_f16_e32 v66, 0x3a52, v63
	v_mul_f16_e32 v68, 0x2b26, v68
	v_mul_f16_e32 v73, 0x3846, v75
	v_add_f16_e32 v51, v50, v51
	v_fma_f16 v75, v53, s5, v54
	v_add_f16_e32 v58, v58, v61
	v_add_f16_e32 v79, v49, v4
	v_fma_f16 v53, v53, s11, -v64
	v_sub_f16_e32 v64, v67, v65
	v_sub_f16_e32 v1, v7, v1
	;; [unrolled: 1-line block ×3, first 2 shown]
	v_mul_f16_e32 v76, 0x3a52, v59
	v_fma_f16 v59, v59, s14, v60
	v_fma_f16 v63, v63, s14, v68
	;; [unrolled: 1-line block ×5, first 2 shown]
	v_fma_f16 v7, v1, s12, -v66
	v_mul_f16_e32 v52, 0xbb00, v50
	v_fma_f16 v60, v64, s13, -v60
	v_fma_f16 v54, v62, s10, -v54
	;; [unrolled: 1-line block ×4, first 2 shown]
	v_fma_f16 v49, v51, s4, v49
	v_add_f16_e32 v63, v63, v4
	v_fma_f16 v65, v64, s12, -v76
	v_add_f16_e32 v60, v60, v61
	v_fma_f16 v54, v55, s4, v54
	v_fma_f16 v50, v51, s4, v50
	v_add_f16_e32 v1, v1, v4
	v_fma_f16 v75, v55, s4, v75
	v_add_f16_e32 v59, v59, v61
	v_sub_f16_e32 v81, v63, v49
	v_fma_f16 v53, v55, s4, v53
	v_add_f16_e32 v65, v65, v61
	v_sub_f16_e32 v55, v60, v54
	v_add_f16_e32 v61, v50, v1
	v_add_f16_e32 v54, v54, v60
	v_sub_f16_e32 v60, v1, v50
	v_add_f16_e32 v62, v49, v63
	s_waitcnt vmcnt(1)
	v_mul_f16_sdwa v49, v47, v72 dst_sel:DWORD dst_unused:UNUSED_PAD src0_sel:DWORD src1_sel:WORD_1
	v_mul_f16_sdwa v50, v45, v70 dst_sel:DWORD dst_unused:UNUSED_PAD src0_sel:DWORD src1_sel:WORD_1
	v_fma_f16 v64, v33, v72, v49
	v_mul_f16_sdwa v49, v48, v71 dst_sel:DWORD dst_unused:UNUSED_PAD src0_sel:DWORD src1_sel:WORD_1
	v_fma_f16 v73, v31, v70, v50
	s_waitcnt vmcnt(0)
	v_mul_f16_sdwa v50, v46, v77 dst_sel:DWORD dst_unused:UNUSED_PAD src0_sel:DWORD src1_sel:WORD_1
	v_add_f16_e32 v67, v53, v65
	v_add_f16_e32 v7, v7, v4
	v_fma_f16 v52, v74, s11, -v52
	v_sub_f16_e32 v53, v65, v53
	v_mul_f16_sdwa v1, v56, v69 dst_sel:DWORD dst_unused:UNUSED_PAD src0_sel:DWORD src1_sel:WORD_1
	v_mul_f16_sdwa v4, v57, v78 dst_sel:DWORD dst_unused:UNUSED_PAD src0_sel:DWORD src1_sel:WORD_1
	v_fma_f16 v65, v34, v71, v49
	v_fma_f16 v74, v32, v77, v50
	v_add_f16_e32 v80, v75, v59
	v_sub_f16_e32 v59, v59, v75
	v_fma_f16 v1, v42, v69, v1
	v_fma_f16 v4, v43, v78, v4
	v_sub_f16_e32 v49, v64, v65
	v_sub_f16_e32 v75, v73, v74
	;; [unrolled: 1-line block ×4, first 2 shown]
	v_mul_f16_sdwa v42, v42, v69 dst_sel:DWORD dst_unused:UNUSED_PAD src0_sel:DWORD src1_sel:WORD_1
	v_sub_f16_e32 v68, v63, v49
	v_mul_f16_e32 v76, 0x3846, v50
	v_add_f16_e32 v49, v49, v75
	v_fma_f16 v56, v56, v69, -v42
	v_mul_u32_u24_e32 v42, 6, v0
	v_fma_f16 v52, v51, s4, v52
	v_fma_f16 v50, v68, s5, v76
	v_add_f16_e32 v82, v63, v49
	v_mul_f16_sdwa v43, v43, v78 dst_sel:DWORD dst_unused:UNUSED_PAD src0_sel:DWORD src1_sel:WORD_1
	v_lshlrev_b32_e32 v42, 2, v42
	v_sub_f16_e32 v66, v7, v52
	v_add_f16_e32 v7, v52, v7
	v_fma_f16 v83, v82, s4, v50
	v_fma_f16 v57, v57, v78, -v43
	global_load_dwordx4 v[49:52], v42, s[8:9] offset:856
	v_mul_f16_sdwa v32, v32, v77 dst_sel:DWORD dst_unused:UNUSED_PAD src0_sel:DWORD src1_sel:WORD_1
	global_load_dwordx2 v[42:43], v42, s[8:9] offset:872
	v_mul_f16_sdwa v31, v31, v70 dst_sel:DWORD dst_unused:UNUSED_PAD src0_sel:DWORD src1_sel:WORD_1
	v_mul_f16_sdwa v34, v34, v71 dst_sel:DWORD dst_unused:UNUSED_PAD src0_sel:DWORD src1_sel:WORD_1
	;; [unrolled: 1-line block ×3, first 2 shown]
	v_fma_f16 v32, v46, v77, -v32
	v_fma_f16 v31, v45, v70, -v31
	v_add_f16_e32 v69, v56, v57
	v_fma_f16 v34, v48, v71, -v34
	v_fma_f16 v33, v47, v72, -v33
	v_add_f16_e32 v45, v31, v32
	v_add_f16_e32 v1, v1, v4
	;; [unrolled: 1-line block ×7, first 2 shown]
	v_sub_f16_e32 v33, v33, v34
	v_sub_f16_e32 v31, v31, v32
	v_sub_f16_e32 v48, v69, v47
	v_sub_f16_e32 v46, v47, v45
	v_add_f16_e32 v47, v47, v70
	v_sub_f16_e32 v64, v1, v4
	v_sub_f16_e32 v73, v4, v72
	v_add_f16_e32 v4, v4, v74
	v_sub_f16_e32 v56, v56, v57
	v_sub_f16_e32 v32, v33, v31
	;; [unrolled: 1-line block ×3, first 2 shown]
	v_mul_f16_e32 v71, 0x3a52, v48
	v_mul_f16_e32 v46, 0x2b26, v46
	v_add_f16_e32 v44, v44, v47
	v_mul_f16_e32 v65, 0x3a52, v64
	v_mul_f16_e32 v73, 0x2b26, v73
	v_add_f16_e32 v30, v30, v4
	v_sub_f16_e32 v34, v56, v33
	v_mul_f16_e32 v32, 0x3846, v32
	v_add_f16_e32 v33, v33, v31
	v_mul_f16_e32 v75, 0xbb00, v63
	v_sub_f16_e32 v45, v45, v69
	v_sub_f16_e32 v1, v72, v1
	;; [unrolled: 1-line block ×3, first 2 shown]
	v_fma_f16 v48, v48, s14, v46
	v_fma_f16 v47, v47, s6, v44
	;; [unrolled: 1-line block ×5, first 2 shown]
	v_add_f16_e32 v33, v56, v33
	v_fma_f16 v68, v68, s11, -v75
	v_fma_f16 v69, v45, s12, -v71
	;; [unrolled: 1-line block ×3, first 2 shown]
	v_mul_f16_e32 v56, 0xbb00, v31
	v_fma_f16 v45, v45, s13, -v46
	v_fma_f16 v46, v63, s10, -v76
	v_fma_f16 v31, v31, s10, -v32
	v_fma_f16 v1, v1, s13, -v73
	v_add_f16_e32 v48, v48, v47
	v_add_f16_e32 v64, v64, v4
	v_fma_f16 v57, v33, s4, v57
	v_fma_f16 v68, v82, s4, v68
	v_add_f16_e32 v69, v69, v47
	v_fma_f16 v34, v34, s11, -v56
	v_add_f16_e32 v45, v45, v47
	v_fma_f16 v46, v82, s4, v46
	v_fma_f16 v31, v33, s4, v31
	v_add_f16_e32 v1, v1, v4
	v_add_f16_e32 v70, v83, v48
	v_sub_f16_e32 v74, v64, v57
	v_add_f16_e32 v71, v68, v69
	v_add_f16_e32 v65, v65, v4
	v_fma_f16 v34, v33, s4, v34
	v_sub_f16_e32 v47, v45, v46
	v_add_f16_e32 v32, v31, v1
	v_add_f16_e32 v33, v46, v45
	v_sub_f16_e32 v31, v1, v31
	v_sub_f16_e32 v45, v69, v68
	;; [unrolled: 1-line block ×3, first 2 shown]
	v_add_f16_e32 v48, v57, v64
	v_sub_f16_e32 v56, v65, v34
	v_add_f16_e32 v34, v34, v65
	s_waitcnt vmcnt(1)
	v_mul_f16_sdwa v1, v38, v49 dst_sel:DWORD dst_unused:UNUSED_PAD src0_sel:DWORD src1_sel:WORD_1
	v_mul_f16_sdwa v63, v39, v52 dst_sel:DWORD dst_unused:UNUSED_PAD src0_sel:DWORD src1_sel:WORD_1
	s_waitcnt vmcnt(0)
	v_mul_f16_sdwa v4, v41, v43 dst_sel:DWORD dst_unused:UNUSED_PAD src0_sel:DWORD src1_sel:WORD_1
	v_mul_f16_sdwa v64, v40, v51 dst_sel:DWORD dst_unused:UNUSED_PAD src0_sel:DWORD src1_sel:WORD_1
	;; [unrolled: 1-line block ×4, first 2 shown]
	v_fma_f16 v1, v26, v49, v1
	v_fma_f16 v4, v29, v43, v4
	;; [unrolled: 1-line block ×6, first 2 shown]
	v_mul_f16_sdwa v29, v29, v43 dst_sel:DWORD dst_unused:UNUSED_PAD src0_sel:DWORD src1_sel:WORD_1
	v_mul_f16_sdwa v26, v26, v49 dst_sel:DWORD dst_unused:UNUSED_PAD src0_sel:DWORD src1_sel:WORD_1
	;; [unrolled: 1-line block ×6, first 2 shown]
	v_sub_f16_e32 v57, v1, v4
	v_fma_f16 v29, v41, v43, -v29
	v_fma_f16 v26, v38, v49, -v26
	;; [unrolled: 1-line block ×6, first 2 shown]
	v_add_f16_e32 v1, v1, v4
	v_add_f16_e32 v50, v69, v72
	v_sub_f16_e32 v65, v63, v64
	v_sub_f16_e32 v73, v69, v72
	v_add_f16_e32 v38, v26, v29
	v_add_f16_e32 v39, v27, v28
	;; [unrolled: 1-line block ×5, first 2 shown]
	v_sub_f16_e32 v27, v27, v28
	v_sub_f16_e32 v24, v24, v25
	;; [unrolled: 1-line block ×4, first 2 shown]
	v_add_f16_e32 v65, v65, v73
	v_add_f16_e32 v42, v38, v36
	v_sub_f16_e32 v43, v1, v4
	v_sub_f16_e32 v51, v4, v50
	v_add_f16_e32 v4, v4, v52
	v_sub_f16_e32 v26, v26, v29
	v_sub_f16_e32 v25, v27, v24
	v_add_f16_e32 v65, v57, v65
	v_sub_f16_e32 v40, v38, v39
	v_sub_f16_e32 v37, v39, v36
	v_add_f16_e32 v39, v39, v42
	v_mul_f16_e32 v49, 0x3a52, v43
	v_mul_f16_e32 v51, 0x2b26, v51
	v_add_f16_e32 v19, v19, v4
	v_sub_f16_e32 v28, v26, v27
	v_mul_f16_e32 v25, 0x3846, v25
	v_add_f16_e32 v27, v27, v24
	v_sub_f16_e32 v57, v73, v57
	v_sub_f16_e32 v1, v50, v1
	;; [unrolled: 1-line block ×3, first 2 shown]
	v_mul_f16_e32 v75, 0x3846, v75
	v_mul_f16_e32 v41, 0x3a52, v40
	;; [unrolled: 1-line block ×3, first 2 shown]
	v_add_f16_e32 v35, v35, v39
	v_fma_f16 v4, v4, s6, v19
	v_add_f16_e32 v27, v26, v27
	v_mul_f16_e32 v63, 0xbb00, v57
	v_sub_f16_e32 v36, v36, v38
	v_fma_f16 v49, v1, s12, -v49
	v_mul_f16_e32 v26, 0xbb00, v24
	v_fma_f16 v24, v24, s10, -v25
	v_fma_f16 v1, v1, s13, -v51
	v_fma_f16 v40, v40, s14, v37
	v_fma_f16 v39, v39, s6, v35
	;; [unrolled: 1-line block ×3, first 2 shown]
	v_fma_f16 v63, v68, s11, -v63
	v_fma_f16 v38, v36, s12, -v41
	;; [unrolled: 1-line block ×4, first 2 shown]
	v_fma_f16 v24, v27, s4, v24
	v_add_f16_e32 v1, v1, v4
	v_add_f16_e32 v43, v43, v4
	v_fma_f16 v29, v28, s5, v25
	v_fma_f16 v63, v65, s4, v63
	v_add_f16_e32 v38, v38, v39
	v_add_f16_e32 v49, v49, v4
	v_fma_f16 v26, v28, s11, -v26
	v_add_f16_e32 v36, v36, v39
	v_fma_f16 v37, v65, s4, v37
	v_add_f16_e32 v4, v24, v1
	v_sub_f16_e32 v24, v1, v24
	v_mov_b32_e32 v1, v5
	v_add_f16_e32 v40, v40, v39
	v_fma_f16 v29, v27, s4, v29
	v_add_f16_e32 v41, v63, v38
	v_fma_f16 v26, v27, s4, v26
	v_sub_f16_e32 v39, v36, v37
	v_add_f16_e32 v25, v37, v36
	v_sub_f16_e32 v27, v38, v63
	v_mov_b32_e32 v37, s3
	v_add_co_u32_e32 v38, vcc, s2, v2
	v_lshlrev_b64 v[1:2], 2, v[0:1]
	v_fma_f16 v76, v68, s5, v75
	v_addc_co_u32_e32 v3, vcc, v37, v3, vcc
	v_fma_f16 v76, v65, s4, v76
	v_add_co_u32_e32 v1, vcc, v38, v1
	v_sub_f16_e32 v52, v43, v29
	v_sub_f16_e32 v36, v40, v76
	v_add_f16_e32 v29, v29, v43
	v_addc_co_u32_e32 v2, vcc, v3, v2, vcc
	v_pack_b32_f16 v3, v19, v35
	v_sub_f16_e32 v28, v49, v26
	v_add_f16_e32 v26, v26, v49
	global_store_dword v[1:2], v3, off
	v_pack_b32_f16 v3, v29, v36
	global_store_dword v[1:2], v3, off offset:864
	v_pack_b32_f16 v3, v26, v27
	global_store_dword v[1:2], v3, off offset:1728
	;; [unrolled: 2-line block ×3, first 2 shown]
	v_pack_b32_f16 v3, v4, v39
	s_movk_i32 s2, 0x1000
	global_store_dword v[1:2], v3, off offset:3456
	v_add_co_u32_e32 v3, vcc, s2, v1
	v_add_f16_e32 v42, v76, v40
	v_pack_b32_f16 v19, v28, v41
	v_addc_co_u32_e32 v4, vcc, 0, v2, vcc
	global_store_dword v[3:4], v19, off offset:224
	v_pack_b32_f16 v19, v52, v42
	global_store_dword v[3:4], v19, off offset:1088
	v_pack_b32_f16 v19, v30, v44
	;; [unrolled: 2-line block ×4, first 2 shown]
	s_mov_b32 s2, 0x97b425f
	global_store_dword v[1:2], v19, off offset:1980
	v_pack_b32_f16 v19, v31, v33
	v_mul_hi_u32 v13, v13, s2
	global_store_dword v[1:2], v19, off offset:2844
	v_pack_b32_f16 v19, v32, v47
	global_store_dword v[1:2], v19, off offset:3708
	v_pack_b32_f16 v19, v56, v71
	;; [unrolled: 2-line block ×3, first 2 shown]
	global_store_dword v[3:4], v19, off offset:1340
	v_mul_u32_u24_e32 v4, 0x510, v13
	v_lshlrev_b64 v[3:4], 2, v[4:5]
	v_pack_b32_f16 v7, v7, v53
	v_add_co_u32_e32 v3, vcc, v1, v3
	v_addc_co_u32_e32 v4, vcc, v2, v4, vcc
	v_pack_b32_f16 v13, v79, v58
	global_store_dword v[3:4], v7, off offset:2232
	v_pack_b32_f16 v7, v60, v54
	global_store_dword v[3:4], v13, off offset:504
	;; [unrolled: 2-line block ×4, first 2 shown]
	global_store_dword v[3:4], v7, off offset:3960
	v_add_co_u32_e32 v3, vcc, 0x1000, v3
	v_pack_b32_f16 v7, v66, v67
	v_addc_co_u32_e32 v4, vcc, 0, v4, vcc
	global_store_dword v[3:4], v7, off offset:728
	v_pack_b32_f16 v7, v81, v80
	global_store_dword v[3:4], v7, off offset:1592
	s_and_b64 exec, exec, s[0:1]
	s_cbranch_execz .LBB0_18
; %bb.17:
	v_subrev_u32_e32 v0, 27, v0
	v_cndmask_b32_e64 v0, v0, v6, s[0:1]
	v_mul_i32_i24_e32 v4, 6, v0
	v_lshlrev_b64 v[3:4], 2, v[4:5]
	v_mov_b32_e32 v0, s9
	v_add_co_u32_e32 v24, vcc, s8, v3
	v_addc_co_u32_e32 v25, vcc, v0, v4, vcc
	global_load_dwordx4 v[3:6], v[24:25], off offset:856
	global_load_dwordx2 v[26:27], v[24:25], off offset:872
	s_waitcnt vmcnt(1)
	v_mul_f16_sdwa v0, v17, v3 dst_sel:DWORD dst_unused:UNUSED_PAD src0_sel:DWORD src1_sel:WORD_1
	v_mul_f16_sdwa v7, v8, v3 dst_sel:DWORD dst_unused:UNUSED_PAD src0_sel:DWORD src1_sel:WORD_1
	;; [unrolled: 1-line block ×5, first 2 shown]
	s_waitcnt vmcnt(0)
	v_mul_f16_sdwa v30, v22, v26 dst_sel:DWORD dst_unused:UNUSED_PAD src0_sel:DWORD src1_sel:WORD_1
	v_mul_f16_sdwa v31, v14, v26 dst_sel:DWORD dst_unused:UNUSED_PAD src0_sel:DWORD src1_sel:WORD_1
	;; [unrolled: 1-line block ×7, first 2 shown]
	v_fma_f16 v0, v8, v3, v0
	v_fma_f16 v3, v17, v3, -v7
	v_fma_f16 v7, v9, v4, v13
	v_fma_f16 v4, v18, v4, -v19
	v_fma_f16 v9, v12, v6, v28
	v_fma_f16 v12, v14, v26, v30
	v_fma_f16 v13, v22, v26, -v31
	v_fma_f16 v11, v11, v27, v32
	v_fma_f16 v14, v20, v27, -v33
	;; [unrolled: 2-line block ×3, first 2 shown]
	v_fma_f16 v6, v21, v6, -v29
	v_add_f16_e32 v15, v0, v11
	v_add_f16_e32 v17, v3, v14
	v_sub_f16_e32 v0, v0, v11
	v_sub_f16_e32 v3, v3, v14
	v_add_f16_e32 v11, v7, v12
	v_add_f16_e32 v14, v4, v13
	v_sub_f16_e32 v7, v7, v12
	v_sub_f16_e32 v4, v4, v13
	;; [unrolled: 4-line block ×4, first 2 shown]
	v_sub_f16_e32 v15, v15, v12
	v_sub_f16_e32 v17, v17, v13
	;; [unrolled: 1-line block ×4, first 2 shown]
	v_add_f16_e32 v20, v8, v7
	v_add_f16_e32 v21, v5, v4
	v_sub_f16_e32 v22, v8, v7
	v_sub_f16_e32 v23, v5, v4
	;; [unrolled: 1-line block ×4, first 2 shown]
	v_add_f16_e32 v6, v12, v6
	v_add_f16_e32 v9, v13, v9
	v_sub_f16_e32 v8, v0, v8
	v_sub_f16_e32 v5, v3, v5
	v_add_f16_e32 v0, v20, v0
	v_add_f16_e32 v3, v21, v3
	v_mul_f16_e32 v12, 0x3a52, v15
	v_mul_f16_e32 v13, 0x3a52, v17
	;; [unrolled: 1-line block ×8, first 2 shown]
	v_add_f16_e32 v10, v10, v6
	v_add_f16_e32 v16, v16, v9
	v_fma_f16 v11, v11, s7, v12
	v_fma_f16 v14, v14, s7, v13
	v_fma_f16 v15, v18, s13, -v15
	v_fma_f16 v17, v19, s13, -v17
	;; [unrolled: 1-line block ×4, first 2 shown]
	v_fma_f16 v18, v8, s5, v20
	v_fma_f16 v19, v5, s5, v21
	v_fma_f16 v7, v7, s10, -v20
	v_fma_f16 v4, v4, s10, -v21
	;; [unrolled: 1-line block ×4, first 2 shown]
	v_fma_f16 v6, v6, s6, v10
	v_fma_f16 v9, v9, s6, v16
	v_add_f16_e32 v11, v11, v6
	v_add_f16_e32 v14, v14, v9
	;; [unrolled: 1-line block ×6, first 2 shown]
	v_fma_f16 v12, v0, s4, v18
	v_fma_f16 v13, v3, s4, v19
	;; [unrolled: 1-line block ×6, first 2 shown]
	v_add_f16_e32 v5, v13, v11
	v_sub_f16_e32 v8, v14, v12
	v_add_f16_e32 v18, v3, v6
	v_sub_f16_e32 v19, v9, v0
	v_sub_f16_e32 v3, v6, v3
	v_add_f16_e32 v6, v0, v9
	v_pack_b32_f16 v0, v10, v16
	global_store_dword v[1:2], v0, off offset:756
	v_pack_b32_f16 v0, v5, v8
	v_sub_f16_e32 v20, v15, v4
	v_add_f16_e32 v21, v7, v17
	global_store_dword v[1:2], v0, off offset:1620
	v_pack_b32_f16 v0, v18, v19
	global_store_dword v[1:2], v0, off offset:2484
	v_pack_b32_f16 v0, v20, v21
	global_store_dword v[1:2], v0, off offset:3348
	v_add_co_u32_e32 v0, vcc, 0x1000, v1
	v_add_f16_e32 v4, v4, v15
	v_sub_f16_e32 v7, v17, v7
	v_sub_f16_e32 v9, v11, v13
	v_add_f16_e32 v11, v12, v14
	v_addc_co_u32_e32 v1, vcc, 0, v2, vcc
	v_pack_b32_f16 v2, v3, v6
	v_pack_b32_f16 v4, v4, v7
	global_store_dword v[0:1], v2, off offset:980
	v_pack_b32_f16 v2, v9, v11
	global_store_dword v[0:1], v4, off offset:116
	global_store_dword v[0:1], v2, off offset:1844
.LBB0_18:
	s_endpgm
	.section	.rodata,"a",@progbits
	.p2align	6, 0x0
	.amdhsa_kernel fft_rtc_back_len1512_factors_2_2_2_3_3_3_7_wgs_63_tpt_63_halfLds_half_ip_CI_unitstride_sbrr_dirReg
		.amdhsa_group_segment_fixed_size 0
		.amdhsa_private_segment_fixed_size 0
		.amdhsa_kernarg_size 88
		.amdhsa_user_sgpr_count 6
		.amdhsa_user_sgpr_private_segment_buffer 1
		.amdhsa_user_sgpr_dispatch_ptr 0
		.amdhsa_user_sgpr_queue_ptr 0
		.amdhsa_user_sgpr_kernarg_segment_ptr 1
		.amdhsa_user_sgpr_dispatch_id 0
		.amdhsa_user_sgpr_flat_scratch_init 0
		.amdhsa_user_sgpr_private_segment_size 0
		.amdhsa_uses_dynamic_stack 0
		.amdhsa_system_sgpr_private_segment_wavefront_offset 0
		.amdhsa_system_sgpr_workgroup_id_x 1
		.amdhsa_system_sgpr_workgroup_id_y 0
		.amdhsa_system_sgpr_workgroup_id_z 0
		.amdhsa_system_sgpr_workgroup_info 0
		.amdhsa_system_vgpr_workitem_id 0
		.amdhsa_next_free_vgpr 97
		.amdhsa_next_free_sgpr 22
		.amdhsa_reserve_vcc 1
		.amdhsa_reserve_flat_scratch 0
		.amdhsa_float_round_mode_32 0
		.amdhsa_float_round_mode_16_64 0
		.amdhsa_float_denorm_mode_32 3
		.amdhsa_float_denorm_mode_16_64 3
		.amdhsa_dx10_clamp 1
		.amdhsa_ieee_mode 1
		.amdhsa_fp16_overflow 0
		.amdhsa_exception_fp_ieee_invalid_op 0
		.amdhsa_exception_fp_denorm_src 0
		.amdhsa_exception_fp_ieee_div_zero 0
		.amdhsa_exception_fp_ieee_overflow 0
		.amdhsa_exception_fp_ieee_underflow 0
		.amdhsa_exception_fp_ieee_inexact 0
		.amdhsa_exception_int_div_zero 0
	.end_amdhsa_kernel
	.text
.Lfunc_end0:
	.size	fft_rtc_back_len1512_factors_2_2_2_3_3_3_7_wgs_63_tpt_63_halfLds_half_ip_CI_unitstride_sbrr_dirReg, .Lfunc_end0-fft_rtc_back_len1512_factors_2_2_2_3_3_3_7_wgs_63_tpt_63_halfLds_half_ip_CI_unitstride_sbrr_dirReg
                                        ; -- End function
	.section	.AMDGPU.csdata,"",@progbits
; Kernel info:
; codeLenInByte = 17336
; NumSgprs: 26
; NumVgprs: 97
; ScratchSize: 0
; MemoryBound: 0
; FloatMode: 240
; IeeeMode: 1
; LDSByteSize: 0 bytes/workgroup (compile time only)
; SGPRBlocks: 3
; VGPRBlocks: 24
; NumSGPRsForWavesPerEU: 26
; NumVGPRsForWavesPerEU: 97
; Occupancy: 2
; WaveLimiterHint : 1
; COMPUTE_PGM_RSRC2:SCRATCH_EN: 0
; COMPUTE_PGM_RSRC2:USER_SGPR: 6
; COMPUTE_PGM_RSRC2:TRAP_HANDLER: 0
; COMPUTE_PGM_RSRC2:TGID_X_EN: 1
; COMPUTE_PGM_RSRC2:TGID_Y_EN: 0
; COMPUTE_PGM_RSRC2:TGID_Z_EN: 0
; COMPUTE_PGM_RSRC2:TIDIG_COMP_CNT: 0
	.type	__hip_cuid_1938136970c7b45,@object ; @__hip_cuid_1938136970c7b45
	.section	.bss,"aw",@nobits
	.globl	__hip_cuid_1938136970c7b45
__hip_cuid_1938136970c7b45:
	.byte	0                               ; 0x0
	.size	__hip_cuid_1938136970c7b45, 1

	.ident	"AMD clang version 19.0.0git (https://github.com/RadeonOpenCompute/llvm-project roc-6.4.0 25133 c7fe45cf4b819c5991fe208aaa96edf142730f1d)"
	.section	".note.GNU-stack","",@progbits
	.addrsig
	.addrsig_sym __hip_cuid_1938136970c7b45
	.amdgpu_metadata
---
amdhsa.kernels:
  - .args:
      - .actual_access:  read_only
        .address_space:  global
        .offset:         0
        .size:           8
        .value_kind:     global_buffer
      - .offset:         8
        .size:           8
        .value_kind:     by_value
      - .actual_access:  read_only
        .address_space:  global
        .offset:         16
        .size:           8
        .value_kind:     global_buffer
      - .actual_access:  read_only
        .address_space:  global
        .offset:         24
        .size:           8
        .value_kind:     global_buffer
      - .offset:         32
        .size:           8
        .value_kind:     by_value
      - .actual_access:  read_only
        .address_space:  global
        .offset:         40
        .size:           8
        .value_kind:     global_buffer
      - .actual_access:  read_only
        .address_space:  global
        .offset:         48
        .size:           8
        .value_kind:     global_buffer
      - .offset:         56
        .size:           4
        .value_kind:     by_value
      - .actual_access:  read_only
        .address_space:  global
        .offset:         64
        .size:           8
        .value_kind:     global_buffer
      - .actual_access:  read_only
        .address_space:  global
        .offset:         72
        .size:           8
        .value_kind:     global_buffer
      - .address_space:  global
        .offset:         80
        .size:           8
        .value_kind:     global_buffer
    .group_segment_fixed_size: 0
    .kernarg_segment_align: 8
    .kernarg_segment_size: 88
    .language:       OpenCL C
    .language_version:
      - 2
      - 0
    .max_flat_workgroup_size: 63
    .name:           fft_rtc_back_len1512_factors_2_2_2_3_3_3_7_wgs_63_tpt_63_halfLds_half_ip_CI_unitstride_sbrr_dirReg
    .private_segment_fixed_size: 0
    .sgpr_count:     26
    .sgpr_spill_count: 0
    .symbol:         fft_rtc_back_len1512_factors_2_2_2_3_3_3_7_wgs_63_tpt_63_halfLds_half_ip_CI_unitstride_sbrr_dirReg.kd
    .uniform_work_group_size: 1
    .uses_dynamic_stack: false
    .vgpr_count:     97
    .vgpr_spill_count: 0
    .wavefront_size: 64
amdhsa.target:   amdgcn-amd-amdhsa--gfx906
amdhsa.version:
  - 1
  - 2
...

	.end_amdgpu_metadata
